;; amdgpu-corpus repo=ROCm/rocFFT kind=compiled arch=gfx1030 opt=O3
	.text
	.amdgcn_target "amdgcn-amd-amdhsa--gfx1030"
	.amdhsa_code_object_version 6
	.protected	bluestein_single_fwd_len952_dim1_dp_op_CI_CI ; -- Begin function bluestein_single_fwd_len952_dim1_dp_op_CI_CI
	.globl	bluestein_single_fwd_len952_dim1_dp_op_CI_CI
	.p2align	8
	.type	bluestein_single_fwd_len952_dim1_dp_op_CI_CI,@function
bluestein_single_fwd_len952_dim1_dp_op_CI_CI: ; @bluestein_single_fwd_len952_dim1_dp_op_CI_CI
; %bb.0:
	s_mov_b64 s[62:63], s[2:3]
	s_mov_b64 s[60:61], s[0:1]
	s_load_dwordx4 s[0:3], s[4:5], 0x28
	v_mul_u32_u24_e32 v1, 0x3c4, v0
	s_add_u32 s60, s60, s7
	s_addc_u32 s61, s61, 0
	v_lshrrev_b32_e32 v1, 16, v1
	v_mad_u64_u32 v[3:4], null, s6, 3, v[1:2]
	v_mov_b32_e32 v4, 0
                                        ; kill: def $vgpr2 killed $sgpr0 killed $exec
	s_waitcnt lgkmcnt(0)
	v_cmp_gt_u64_e32 vcc_lo, s[0:1], v[3:4]
	s_and_saveexec_b32 s0, vcc_lo
	s_cbranch_execz .LBB0_23
; %bb.1:
	v_mul_hi_u32 v2, 0xaaaaaaab, v3
	v_mul_lo_u16 v1, 0x44, v1
	s_clause 0x1
	s_load_dwordx2 s[12:13], s[4:5], 0x0
	s_load_dwordx2 s[14:15], s[4:5], 0x38
	v_sub_nc_u16 v0, v0, v1
	v_mov_b32_e32 v1, v3
	v_lshrrev_b32_e32 v2, 1, v2
	v_cmp_gt_u16_e32 vcc_lo, 56, v0
	v_lshl_add_u32 v2, v2, 1, v2
	buffer_store_dword v1, off, s[60:63], 0 offset:16 ; 4-byte Folded Spill
	buffer_store_dword v2, off, s[60:63], 0 offset:20 ; 4-byte Folded Spill
	v_sub_nc_u32_e32 v1, v3, v2
	v_and_b32_e32 v2, 0xffff, v0
	v_mul_u32_u24_e32 v216, 0x3b8, v1
	v_or_b32_e32 v0, 0x1c0, v2
	buffer_store_dword v0, off, s[60:63], 0 offset:212 ; 4-byte Folded Spill
	v_lshlrev_b32_e32 v0, 4, v216
	buffer_store_dword v0, off, s[60:63], 0 offset:4 ; 4-byte Folded Spill
	buffer_store_dword v2, off, s[60:63], 0 ; 4-byte Folded Spill
	v_or_b32_e32 v0, 0x380, v2
	buffer_store_dword v0, off, s[60:63], 0 offset:208 ; 4-byte Folded Spill
	s_and_saveexec_b32 s1, vcc_lo
	s_cbranch_execz .LBB0_3
; %bb.2:
	buffer_load_dword v157, off, s[60:63], 0 ; 4-byte Folded Reload
	s_load_dwordx2 s[6:7], s[4:5], 0x18
	s_waitcnt lgkmcnt(0)
	s_load_dwordx4 s[8:11], s[6:7], 0x0
	s_waitcnt lgkmcnt(0)
	s_mul_i32 s6, s9, 0x380
	s_mul_hi_u32 s7, s8, 0x380
	s_add_i32 s7, s7, s6
	s_waitcnt vmcnt(0)
	v_lshlrev_b32_e32 v156, 4, v157
	v_mad_u64_u32 v[32:33], null, s8, v157, 0
	v_or_b32_e32 v42, 0x380, v157
	v_or_b32_e32 v43, 0x1c0, v157
	s_clause 0x2
	global_load_dwordx4 v[0:3], v156, s[12:13]
	global_load_dwordx4 v[4:7], v156, s[12:13] offset:896
	global_load_dwordx4 v[8:11], v156, s[12:13] offset:1792
	s_clause 0x1
	buffer_load_dword v15, off, s[60:63], 0 offset:16
	buffer_load_dword v16, off, s[60:63], 0 offset:20
	v_add_co_u32 v12, s0, s12, v156
	v_mov_b32_e32 v19, v33
	v_add_co_ci_u32_e64 v13, null, s13, 0, s0
	v_lshlrev_b32_e32 v20, 4, v42
	v_add_co_u32 v26, s0, 0x800, v12
	v_add_co_ci_u32_e64 v27, s0, 0, v13, s0
	v_add_co_u32 v34, s0, 0x1000, v12
	v_add_co_ci_u32_e64 v35, s0, 0, v13, s0
	v_add_co_u32 v50, s0, 0x1800, v12
	v_add_co_ci_u32_e64 v51, s0, 0, v13, s0
	v_add_co_u32 v66, s0, 0x2000, v12
	v_add_co_ci_u32_e64 v67, s0, 0, v13, s0
	v_add_co_u32 v78, s0, 0x2800, v12
	v_add_co_ci_u32_e64 v79, s0, 0, v13, s0
	v_add_co_u32 v12, s0, 0x3000, v12
	v_add_co_ci_u32_e64 v13, s0, 0, v13, s0
	v_lshlrev_b32_e32 v14, 4, v43
	s_waitcnt vmcnt(1)
	v_mov_b32_e32 v21, v15
	global_load_dwordx4 v[14:17], v14, s[12:13]
	v_mad_u64_u32 v[30:31], null, s10, v21, 0
	s_mul_i32 s10, s8, 0x380
	v_mov_b32_e32 v18, v31
	v_mad_u64_u32 v[36:37], null, s11, v21, v[18:19]
	v_mad_u64_u32 v[37:38], null, s9, v157, v[19:20]
	v_mad_u64_u32 v[38:39], null, s8, v42, 0
	s_clause 0x2
	global_load_dwordx4 v[18:21], v20, s[12:13]
	global_load_dwordx4 v[22:25], v[26:27], off offset:640
	global_load_dwordx4 v[26:29], v[26:27], off offset:1536
	v_mov_b32_e32 v31, v36
	v_mov_b32_e32 v33, v37
	v_mad_u64_u32 v[36:37], null, s8, v43, 0
	v_lshlrev_b64 v[30:31], 4, v[30:31]
	v_lshlrev_b64 v[32:33], 4, v[32:33]
	v_add_co_u32 v44, s0, s2, v30
	v_add_co_ci_u32_e64 v45, s0, s3, v31, s0
	v_mov_b32_e32 v30, v37
	v_add_co_u32 v40, s0, v44, v32
	v_add_co_ci_u32_e64 v41, s0, v45, v33, s0
	v_mov_b32_e32 v31, v39
	v_add_co_u32 v58, s0, v40, s10
	v_add_co_ci_u32_e64 v59, s0, s7, v41, s0
	v_mad_u64_u32 v[32:33], null, s9, v43, v[30:31]
	v_add_co_u32 v70, s0, v58, s10
	v_add_co_ci_u32_e64 v71, s0, s7, v59, s0
	v_add_co_u32 v82, s0, v70, s10
	v_add_co_ci_u32_e64 v83, s0, s7, v71, s0
	v_mad_u64_u32 v[30:31], null, s9, v42, v[31:32]
	v_add_co_u32 v86, s0, v82, s10
	v_add_co_ci_u32_e64 v87, s0, s7, v83, s0
	v_mov_b32_e32 v37, v32
	v_add_co_u32 v90, s0, v86, s10
	v_add_co_ci_u32_e64 v91, s0, s7, v87, s0
	v_mov_b32_e32 v39, v30
	v_add_co_u32 v94, s0, v90, s10
	v_add_co_ci_u32_e64 v95, s0, s7, v91, s0
	v_lshlrev_b64 v[42:43], 4, v[36:37]
	v_add_co_u32 v98, s0, v94, s10
	v_add_co_ci_u32_e64 v99, s0, s7, v95, s0
	v_lshlrev_b64 v[38:39], 4, v[38:39]
	v_add_co_u32 v42, s0, v44, v42
	v_mad_u64_u32 v[102:103], null, 0x700, s8, v[98:99]
	v_add_co_ci_u32_e64 v43, s0, v45, v43, s0
	v_add_co_u32 v54, s0, v44, v38
	v_add_co_ci_u32_e64 v55, s0, v45, v39, s0
	v_mov_b32_e32 v62, v103
	s_clause 0x1
	global_load_dwordx4 v[30:33], v[34:35], off offset:384
	global_load_dwordx4 v[34:37], v[34:35], off offset:1280
	s_clause 0x1
	global_load_dwordx4 v[38:41], v[40:41], off
	global_load_dwordx4 v[42:45], v[42:43], off
	s_clause 0x1
	global_load_dwordx4 v[46:49], v[50:51], off offset:128
	global_load_dwordx4 v[50:53], v[50:51], off offset:1920
	s_clause 0x1
	global_load_dwordx4 v[54:57], v[54:55], off
	global_load_dwordx4 v[58:61], v[58:59], off
	v_add_co_u32 v106, s0, v102, s10
	v_mad_u64_u32 v[96:97], null, 0x700, s9, v[62:63]
	s_clause 0x1
	global_load_dwordx4 v[62:65], v[66:67], off offset:768
	global_load_dwordx4 v[66:69], v[66:67], off offset:1664
	global_load_dwordx4 v[70:73], v[70:71], off
	s_clause 0x1
	global_load_dwordx4 v[74:77], v[78:79], off offset:512
	global_load_dwordx4 v[78:81], v[78:79], off offset:1408
	s_clause 0x1
	global_load_dwordx4 v[82:85], v[82:83], off
	global_load_dwordx4 v[86:89], v[86:87], off
	;; [unrolled: 1-line block ×4, first 2 shown]
	v_mov_b32_e32 v103, v96
	global_load_dwordx4 v[94:97], v[94:95], off
	v_add_co_ci_u32_e64 v107, s0, s7, v103, s0
	v_add_co_u32 v110, s0, v106, s10
	global_load_dwordx4 v[102:105], v[102:103], off
	v_add_co_ci_u32_e64 v111, s0, s7, v107, s0
	v_add_co_u32 v114, s0, v110, s10
	;; [unrolled: 3-line block ×5, first 2 shown]
	v_add_co_ci_u32_e64 v135, s0, s7, v123, s0
	global_load_dwordx4 v[118:121], v[118:119], off
	global_load_dwordx4 v[122:125], v[122:123], off
	s_clause 0x1
	global_load_dwordx4 v[126:129], v[12:13], off offset:256
	global_load_dwordx4 v[130:133], v[12:13], off offset:1152
	global_load_dwordx4 v[134:137], v[134:135], off
	s_waitcnt vmcnt(24)
	v_mul_f64 v[12:13], v[40:41], v[2:3]
	v_mul_f64 v[2:3], v[38:39], v[2:3]
	s_waitcnt vmcnt(23)
	v_mul_f64 v[138:139], v[44:45], v[16:17]
	v_mul_f64 v[16:17], v[42:43], v[16:17]
	s_waitcnt vmcnt(19)
	v_mul_f64 v[142:143], v[60:61], v[6:7]
	v_mul_f64 v[144:145], v[58:59], v[6:7]
	s_waitcnt vmcnt(16)
	v_mul_f64 v[146:147], v[72:73], v[10:11]
	v_mul_f64 v[148:149], v[70:71], v[10:11]
	v_mul_f64 v[140:141], v[56:57], v[20:21]
	s_waitcnt vmcnt(13)
	v_mul_f64 v[150:151], v[84:85], v[24:25]
	v_mul_f64 v[24:25], v[82:83], v[24:25]
	s_waitcnt vmcnt(12)
	v_mul_f64 v[154:155], v[88:89], v[28:29]
	v_mul_f64 v[28:29], v[86:87], v[28:29]
	;; [unrolled: 1-line block ×3, first 2 shown]
	v_fma_f64 v[10:11], v[38:39], v[0:1], v[12:13]
	v_fma_f64 v[12:13], v[40:41], v[0:1], -v[2:3]
	s_waitcnt vmcnt(11)
	v_mul_f64 v[40:41], v[92:93], v[32:33]
	v_mul_f64 v[32:33], v[90:91], v[32:33]
	v_fma_f64 v[0:1], v[42:43], v[14:15], v[138:139]
	v_fma_f64 v[2:3], v[44:45], v[14:15], -v[16:17]
	v_fma_f64 v[14:15], v[58:59], v[4:5], v[142:143]
	v_fma_f64 v[16:17], v[60:61], v[4:5], -v[144:145]
	s_waitcnt vmcnt(9)
	v_mul_f64 v[4:5], v[96:97], v[36:37]
	v_mul_f64 v[42:43], v[94:95], v[36:37]
	v_fma_f64 v[36:37], v[70:71], v[8:9], v[146:147]
	v_fma_f64 v[38:39], v[72:73], v[8:9], -v[148:149]
	v_mul_f64 v[8:9], v[100:101], v[48:49]
	v_mul_f64 v[44:45], v[98:99], v[48:49]
	s_waitcnt vmcnt(8)
	v_mul_f64 v[48:49], v[104:105], v[52:53]
	v_mul_f64 v[52:53], v[102:103], v[52:53]
	v_fma_f64 v[6:7], v[54:55], v[18:19], v[140:141]
	s_waitcnt vmcnt(7)
	v_mul_f64 v[54:55], v[108:109], v[64:65]
	v_mul_f64 v[58:59], v[106:107], v[64:65]
	s_waitcnt vmcnt(6)
	v_mul_f64 v[60:61], v[112:113], v[68:69]
	v_mul_f64 v[64:65], v[110:111], v[68:69]
	;; [unrolled: 3-line block ×4, first 2 shown]
	v_fma_f64 v[20:21], v[82:83], v[22:23], v[150:151]
	s_waitcnt vmcnt(2)
	v_mul_f64 v[80:81], v[124:125], v[128:129]
	v_mul_f64 v[82:83], v[122:123], v[128:129]
	v_fma_f64 v[22:23], v[84:85], v[22:23], -v[24:25]
	s_waitcnt vmcnt(0)
	v_mul_f64 v[84:85], v[136:137], v[132:133]
	v_mul_f64 v[128:129], v[134:135], v[132:133]
	v_fma_f64 v[24:25], v[86:87], v[26:27], v[154:155]
	v_fma_f64 v[26:27], v[88:89], v[26:27], -v[28:29]
	v_fma_f64 v[28:29], v[90:91], v[30:31], v[40:41]
	v_fma_f64 v[30:31], v[92:93], v[30:31], -v[32:33]
	;; [unrolled: 2-line block ×8, first 2 shown]
	v_lshlrev_b32_e32 v5, 4, v216
	v_fma_f64 v[62:63], v[118:119], v[78:79], v[72:73]
	v_fma_f64 v[64:65], v[120:121], v[78:79], -v[76:77]
	v_fma_f64 v[66:67], v[122:123], v[126:127], v[80:81]
	v_fma_f64 v[68:69], v[124:125], v[126:127], -v[82:83]
	;; [unrolled: 2-line block ×3, first 2 shown]
	v_fma_f64 v[8:9], v[56:57], v[18:19], -v[152:153]
	v_lshl_add_u32 v4, v157, 4, v5
	v_add_nc_u32_e32 v5, v5, v156
	ds_write_b128 v4, v[10:13]
	ds_write_b128 v5, v[0:3] offset:7168
	ds_write_b128 v5, v[14:17] offset:896
	;; [unrolled: 1-line block ×16, first 2 shown]
.LBB0_3:
	s_or_b32 exec_lo, exec_lo, s1
	s_waitcnt lgkmcnt(0)
	s_waitcnt_vscnt null, 0x0
	s_barrier
	buffer_gl0_inv
                                        ; implicit-def: $vgpr4_vgpr5
                                        ; implicit-def: $vgpr28_vgpr29
                                        ; implicit-def: $vgpr32_vgpr33
                                        ; implicit-def: $vgpr48_vgpr49
                                        ; implicit-def: $vgpr76_vgpr77
                                        ; implicit-def: $vgpr44_vgpr45
                                        ; implicit-def: $vgpr24_vgpr25
                                        ; implicit-def: $vgpr12_vgpr13
                                        ; implicit-def: $vgpr8_vgpr9
                                        ; implicit-def: $vgpr16_vgpr17
                                        ; implicit-def: $vgpr20_vgpr21
                                        ; implicit-def: $vgpr84_vgpr85
                                        ; implicit-def: $vgpr80_vgpr81
                                        ; implicit-def: $vgpr72_vgpr73
                                        ; implicit-def: $vgpr68_vgpr69
                                        ; implicit-def: $vgpr40_vgpr41
                                        ; implicit-def: $vgpr36_vgpr37
	s_and_saveexec_b32 s0, vcc_lo
	s_cbranch_execz .LBB0_5
; %bb.4:
	buffer_load_dword v0, off, s[60:63], 0  ; 4-byte Folded Reload
	s_waitcnt vmcnt(0)
	v_lshlrev_b32_e32 v0, 4, v0
	v_lshl_add_u32 v0, v216, 4, v0
	ds_read_b128 v[4:7], v0
	ds_read_b128 v[36:39], v0 offset:896
	ds_read_b128 v[40:43], v0 offset:1792
	;; [unrolled: 1-line block ×16, first 2 shown]
.LBB0_5:
	s_or_b32 exec_lo, exec_lo, s0
	s_waitcnt lgkmcnt(0)
	v_add_f64 v[142:143], v[38:39], -v[10:11]
	v_add_f64 v[162:163], v[36:37], -v[8:9]
	s_mov_b32 s0, 0x5d8e7cdc
	s_mov_b32 s1, 0xbfd71e95
	v_add_f64 v[94:95], v[42:43], -v[14:15]
	v_add_f64 v[90:91], v[40:41], -v[12:13]
	s_mov_b32 s10, 0x2a9d6da3
	s_mov_b32 s11, 0xbfe58eea
	;; [unrolled: 4-line block ×4, first 2 shown]
	v_add_f64 v[140:141], v[8:9], v[36:37]
	v_add_f64 v[160:161], v[10:11], v[38:39]
	s_mov_b32 s18, 0x370991
	s_mov_b32 s19, 0x3fedd6d0
	v_add_f64 v[88:89], v[12:13], v[40:41]
	v_add_f64 v[102:103], v[14:15], v[42:43]
	v_mul_f64 v[0:1], v[142:143], s[0:1]
	v_mul_f64 v[2:3], v[162:163], s[0:1]
	s_mov_b32 s16, 0x75d4884
	s_mov_b32 s17, 0x3fe7a5f6
	v_mul_f64 v[52:53], v[94:95], s[10:11]
	v_mul_f64 v[54:55], v[90:91], s[10:11]
	v_add_f64 v[110:111], v[30:31], v[18:19]
	s_mov_b32 s20, 0x2b2883cd
	v_mul_f64 v[56:57], v[96:97], s[8:9]
	v_mul_f64 v[60:61], v[98:99], s[8:9]
	s_mov_b32 s21, 0x3fdc86fa
	v_add_f64 v[120:121], v[34:35], v[22:23]
	v_mul_f64 v[58:59], v[108:109], s[22:23]
	v_mul_f64 v[62:63], v[104:105], s[22:23]
	s_mov_b32 s24, 0x3259b75e
	s_mov_b32 s25, 0x3fb79ee6
	v_add_f64 v[114:115], v[70:71], -v[26:27]
	s_mov_b32 s28, 0x923c349f
	s_mov_b32 s29, 0xbfeec746
	v_add_f64 v[92:93], v[28:29], v[16:17]
	v_add_f64 v[100:101], v[32:33], v[20:21]
	;; [unrolled: 1-line block ×3, first 2 shown]
	buffer_store_dword v0, off, s[60:63], 0 offset:96 ; 4-byte Folded Spill
	buffer_store_dword v1, off, s[60:63], 0 offset:100 ; 4-byte Folded Spill
	;; [unrolled: 1-line block ×16, first 2 shown]
	v_add_f64 v[118:119], v[68:69], -v[24:25]
	s_mov_b32 s26, 0xc61f0d01
	s_mov_b32 s27, 0xbfd183b1
	v_add_f64 v[144:145], v[26:27], v[70:71]
	v_add_f64 v[116:117], v[74:75], -v[46:47]
	s_mov_b32 s34, 0x6c9a05f6
	s_mov_b32 s35, 0xbfe9895b
	v_add_f64 v[112:113], v[44:45], v[72:73]
	;; [unrolled: 4-line block ×3, first 2 shown]
	v_add_f64 v[128:129], v[50:51], -v[86:87]
	s_mov_b32 s40, 0x4363dd80
	s_mov_b32 s41, 0x3fe0d888
	;; [unrolled: 1-line block ×4, first 2 shown]
	v_add_f64 v[122:123], v[48:49], v[84:85]
	v_add_f64 v[130:131], v[48:49], -v[84:85]
	s_mov_b32 s38, 0x910ea3b9
	s_mov_b32 s39, 0xbfeb34fa
	v_add_f64 v[136:137], v[50:51], v[86:87]
	v_mul_f64 v[206:207], v[118:119], s[28:29]
	v_add_f64 v[132:133], v[78:79], -v[82:83]
	s_mov_b32 s42, 0xacd6c6b4
	s_mov_b32 s43, 0xbfc7851a
	v_mul_f64 v[204:205], v[116:117], s[34:35]
	v_add_f64 v[124:125], v[76:77], v[80:81]
	v_add_f64 v[134:135], v[76:77], -v[80:81]
	s_mov_b32 s36, 0x7faef3
	v_mul_f64 v[212:213], v[126:127], s[34:35]
	s_mov_b32 s37, 0xbfef7484
	v_add_f64 v[138:139], v[78:79], v[82:83]
	v_mul_f64 v[186:187], v[142:143], s[10:11]
	v_mul_f64 v[210:211], v[128:129], s[48:49]
	;; [unrolled: 1-line block ×13, first 2 shown]
	s_mov_b32 s45, 0x3feec746
	s_mov_b32 s44, s28
	;; [unrolled: 1-line block ×3, first 2 shown]
	v_mul_f64 v[233:234], v[116:117], s[44:45]
	v_mul_f64 v[223:224], v[134:135], s[42:43]
	;; [unrolled: 1-line block ×3, first 2 shown]
	s_mov_b32 s46, s8
	s_mov_b32 s53, 0x3fd71e95
	v_mul_f64 v[235:236], v[128:129], s[46:47]
	v_mul_f64 v[247:248], v[130:131], s[46:47]
	s_mov_b32 s52, s0
	v_mul_f64 v[190:191], v[142:143], s[8:9]
	v_mul_f64 v[243:244], v[132:133], s[52:53]
	;; [unrolled: 1-line block ×5, first 2 shown]
	s_mov_b32 s51, 0x3fc7851a
	s_mov_b32 s50, s42
	v_mul_f64 v[166:167], v[104:105], s[44:45]
	v_mul_f64 v[249:250], v[96:97], s[50:51]
	;; [unrolled: 1-line block ×3, first 2 shown]
	s_mov_b32 s55, 0x3fe58eea
	s_mov_b32 s54, s10
	v_mul_f64 v[154:155], v[116:117], s[0:1]
	v_mul_f64 v[152:153], v[114:115], s[54:55]
	;; [unrolled: 1-line block ×18, first 2 shown]
	s_mov_b32 s59, 0x3fe9895b
	s_mov_b32 s58, s34
	v_mul_f64 v[202:203], v[90:91], s[40:41]
	v_mul_f64 v[198:199], v[142:143], s[28:29]
	;; [unrolled: 1-line block ×3, first 2 shown]
	s_mov_b32 s57, 0x3fefdd0d
	s_mov_b32 s56, s22
	v_fma_f64 v[0:1], v[140:141], s[18:19], v[0:1]
	v_fma_f64 v[2:3], v[160:161], s[18:19], -v[2:3]
	v_fma_f64 v[52:53], v[88:89], s[16:17], v[52:53]
	v_fma_f64 v[54:55], v[102:103], s[16:17], -v[54:55]
	v_fma_f64 v[56:57], v[92:93], s[20:21], v[56:57]
	v_add_f64 v[0:1], v[4:5], v[0:1]
	v_add_f64 v[2:3], v[6:7], v[2:3]
	v_add_f64 v[0:1], v[52:53], v[0:1]
	v_add_f64 v[2:3], v[54:55], v[2:3]
	v_fma_f64 v[52:53], v[110:111], s[20:21], -v[60:61]
	v_fma_f64 v[54:55], v[100:101], s[24:25], v[58:59]
	v_add_f64 v[0:1], v[56:57], v[0:1]
	v_add_f64 v[2:3], v[52:53], v[2:3]
	v_fma_f64 v[52:53], v[120:121], s[24:25], -v[62:63]
	v_add_f64 v[0:1], v[54:55], v[0:1]
	v_add_f64 v[2:3], v[52:53], v[2:3]
	v_mul_f64 v[52:53], v[114:115], s[28:29]
	buffer_store_dword v52, off, s[60:63], 0 offset:88 ; 4-byte Folded Spill
	buffer_store_dword v53, off, s[60:63], 0 offset:92 ; 4-byte Folded Spill
	v_fma_f64 v[52:53], v[106:107], s[26:27], v[52:53]
	v_add_f64 v[0:1], v[52:53], v[0:1]
	v_fma_f64 v[52:53], v[144:145], s[26:27], -v[206:207]
	v_add_f64 v[2:3], v[52:53], v[2:3]
	v_fma_f64 v[52:53], v[112:113], s[30:31], v[204:205]
	v_add_f64 v[0:1], v[52:53], v[0:1]
	v_fma_f64 v[52:53], v[146:147], s[30:31], -v[212:213]
	v_add_f64 v[2:3], v[52:53], v[2:3]
	;; [unrolled: 4-line block ×4, first 2 shown]
	v_fma_f64 v[0:1], v[140:141], s[16:17], v[186:187]
	v_fma_f64 v[2:3], v[88:89], s[24:25], v[219:220]
	buffer_store_dword v52, off, s[60:63], 0 offset:24 ; 4-byte Folded Spill
	buffer_store_dword v53, off, s[60:63], 0 offset:28 ; 4-byte Folded Spill
	;; [unrolled: 1-line block ×4, first 2 shown]
	v_add_f64 v[0:1], v[4:5], v[0:1]
	v_fma_f64 v[52:53], v[102:103], s[24:25], -v[227:228]
	v_add_f64 v[0:1], v[2:3], v[0:1]
	v_fma_f64 v[2:3], v[160:161], s[16:17], -v[188:189]
	v_add_f64 v[2:3], v[6:7], v[2:3]
	v_add_f64 v[2:3], v[52:53], v[2:3]
	v_fma_f64 v[52:53], v[92:93], s[30:31], v[221:222]
	v_add_f64 v[0:1], v[52:53], v[0:1]
	v_fma_f64 v[52:53], v[110:111], s[30:31], -v[231:232]
	v_add_f64 v[2:3], v[52:53], v[2:3]
	v_fma_f64 v[52:53], v[100:101], s[36:37], v[225:226]
	v_add_f64 v[0:1], v[52:53], v[0:1]
	v_fma_f64 v[52:53], v[120:121], s[36:37], -v[237:238]
	;; [unrolled: 4-line block ×6, first 2 shown]
	v_add_f64 v[54:55], v[0:1], v[2:3]
	v_fma_f64 v[0:1], v[140:141], s[20:21], v[190:191]
	v_fma_f64 v[2:3], v[88:89], s[30:31], v[245:246]
	v_add_f64 v[0:1], v[4:5], v[0:1]
	v_add_f64 v[0:1], v[2:3], v[0:1]
	v_fma_f64 v[2:3], v[160:161], s[20:21], -v[192:193]
	v_add_f64 v[56:57], v[6:7], v[2:3]
	v_mul_f64 v[2:3], v[90:91], s[34:35]
	v_fma_f64 v[58:59], v[102:103], s[30:31], -v[2:3]
	v_add_f64 v[56:57], v[58:59], v[56:57]
	v_fma_f64 v[58:59], v[92:93], s[36:37], v[249:250]
	v_add_f64 v[58:59], v[58:59], v[0:1]
	v_fma_f64 v[0:1], v[110:111], s[36:37], -v[156:157]
	v_add_f64 v[56:57], v[0:1], v[56:57]
	v_mul_f64 v[0:1], v[108:109], s[44:45]
	v_fma_f64 v[60:61], v[100:101], s[26:27], v[0:1]
	v_add_f64 v[58:59], v[60:61], v[58:59]
	v_fma_f64 v[60:61], v[120:121], s[26:27], -v[166:167]
	v_add_f64 v[56:57], v[60:61], v[56:57]
	v_fma_f64 v[60:61], v[106:107], s[16:17], v[152:153]
	v_add_f64 v[58:59], v[60:61], v[58:59]
	v_fma_f64 v[60:61], v[144:145], s[16:17], -v[178:179]
	v_add_f64 v[56:57], v[60:61], v[56:57]
	;; [unrolled: 4-line block ×4, first 2 shown]
	v_fma_f64 v[60:61], v[124:125], s[38:39], v[148:149]
	v_add_f64 v[64:65], v[60:61], v[58:59]
	v_fma_f64 v[58:59], v[138:139], s[38:39], -v[172:173]
	v_fma_f64 v[60:61], v[102:103], s[36:37], -v[176:177]
	v_add_f64 v[66:67], v[58:59], v[56:57]
	v_fma_f64 v[56:57], v[140:141], s[24:25], v[194:195]
	v_fma_f64 v[58:59], v[88:89], s[36:37], v[251:252]
	v_add_f64 v[56:57], v[4:5], v[56:57]
	v_add_f64 v[56:57], v[58:59], v[56:57]
	v_fma_f64 v[58:59], v[160:161], s[24:25], -v[196:197]
	v_add_f64 v[58:59], v[6:7], v[58:59]
	v_add_f64 v[58:59], v[60:61], v[58:59]
	v_fma_f64 v[60:61], v[92:93], s[26:27], v[158:159]
	v_add_f64 v[56:57], v[60:61], v[56:57]
	v_fma_f64 v[60:61], v[110:111], s[26:27], -v[180:181]
	v_add_f64 v[58:59], v[60:61], v[58:59]
	v_fma_f64 v[60:61], v[100:101], s[18:19], v[164:165]
	v_add_f64 v[56:57], v[60:61], v[56:57]
	v_fma_f64 v[60:61], v[120:121], s[18:19], -v[182:183]
	;; [unrolled: 4-line block ×3, first 2 shown]
	v_add_f64 v[58:59], v[60:61], v[58:59]
	v_mul_f64 v[60:61], v[116:117], s[48:49]
	buffer_store_dword v60, off, s[60:63], 0 offset:128 ; 4-byte Folded Spill
	buffer_store_dword v61, off, s[60:63], 0 offset:132 ; 4-byte Folded Spill
	v_fma_f64 v[60:61], v[112:113], s[38:39], v[60:61]
	v_add_f64 v[56:57], v[60:61], v[56:57]
	v_mul_f64 v[60:61], v[126:127], s[48:49]
	buffer_store_dword v60, off, s[60:63], 0 offset:216 ; 4-byte Folded Spill
	buffer_store_dword v61, off, s[60:63], 0 offset:220 ; 4-byte Folded Spill
	v_fma_f64 v[60:61], v[146:147], s[38:39], -v[60:61]
	v_add_f64 v[58:59], v[60:61], v[58:59]
	v_mul_f64 v[60:61], v[128:129], s[58:59]
	buffer_store_dword v60, off, s[60:63], 0 offset:144 ; 4-byte Folded Spill
	buffer_store_dword v61, off, s[60:63], 0 offset:148 ; 4-byte Folded Spill
	v_fma_f64 v[60:61], v[122:123], s[30:31], v[60:61]
	v_add_f64 v[56:57], v[60:61], v[56:57]
	v_mul_f64 v[60:61], v[130:131], s[58:59]
	buffer_store_dword v60, off, s[60:63], 0 offset:232 ; 4-byte Folded Spill
	buffer_store_dword v61, off, s[60:63], 0 offset:236 ; 4-byte Folded Spill
	v_fma_f64 v[60:61], v[136:137], s[30:31], -v[60:61]
	;; [unrolled: 10-line block ×3, first 2 shown]
	v_add_f64 v[62:63], v[56:57], v[58:59]
	v_mul_f64 v[58:59], v[94:95], s[40:41]
	buffer_store_dword v58, off, s[60:63], 0 offset:112 ; 4-byte Folded Spill
	buffer_store_dword v59, off, s[60:63], 0 offset:116 ; 4-byte Folded Spill
	buffer_store_dword v202, off, s[60:63], 0 offset:288 ; 4-byte Folded Spill
	buffer_store_dword v203, off, s[60:63], 0 offset:292 ; 4-byte Folded Spill
	v_fma_f64 v[56:57], v[140:141], s[26:27], v[198:199]
	v_add_f64 v[56:57], v[4:5], v[56:57]
	v_fma_f64 v[58:59], v[88:89], s[38:39], v[58:59]
	v_fma_f64 v[202:203], v[102:103], s[38:39], -v[202:203]
	v_add_f64 v[56:57], v[58:59], v[56:57]
	v_fma_f64 v[58:59], v[160:161], s[26:27], -v[200:201]
	v_add_f64 v[58:59], v[6:7], v[58:59]
	v_add_f64 v[58:59], v[202:203], v[58:59]
	v_mul_f64 v[202:203], v[96:97], s[54:55]
	buffer_store_dword v202, off, s[60:63], 0 offset:120 ; 4-byte Folded Spill
	buffer_store_dword v203, off, s[60:63], 0 offset:124 ; 4-byte Folded Spill
	v_fma_f64 v[202:203], v[92:93], s[16:17], v[202:203]
	v_add_f64 v[56:57], v[202:203], v[56:57]
	v_mul_f64 v[202:203], v[98:99], s[54:55]
	buffer_store_dword v202, off, s[60:63], 0 offset:296 ; 4-byte Folded Spill
	buffer_store_dword v203, off, s[60:63], 0 offset:300 ; 4-byte Folded Spill
	v_fma_f64 v[202:203], v[110:111], s[16:17], -v[202:203]
	v_add_f64 v[58:59], v[202:203], v[58:59]
	v_mul_f64 v[202:203], v[108:109], s[8:9]
	buffer_store_dword v202, off, s[60:63], 0 offset:176 ; 4-byte Folded Spill
	buffer_store_dword v203, off, s[60:63], 0 offset:180 ; 4-byte Folded Spill
	v_fma_f64 v[202:203], v[100:101], s[20:21], v[202:203]
	v_add_f64 v[56:57], v[202:203], v[56:57]
	v_mul_f64 v[202:203], v[104:105], s[8:9]
	buffer_store_dword v202, off, s[60:63], 0 offset:320 ; 4-byte Folded Spill
	buffer_store_dword v203, off, s[60:63], 0 offset:324 ; 4-byte Folded Spill
	v_fma_f64 v[202:203], v[120:121], s[20:21], -v[202:203]
	;; [unrolled: 10-line block ×3, first 2 shown]
	v_mul_f64 v[202:203], v[116:117], s[56:57]
	buffer_store_dword v202, off, s[60:63], 0 offset:264 ; 4-byte Folded Spill
	buffer_store_dword v203, off, s[60:63], 0 offset:268 ; 4-byte Folded Spill
	v_add_f64 v[58:59], v[208:209], v[58:59]
	v_fma_f64 v[208:209], v[112:113], s[24:25], v[202:203]
	v_add_f64 v[56:57], v[208:209], v[56:57]
	v_mul_f64 v[208:209], v[126:127], s[56:57]
	v_fma_f64 v[202:203], v[146:147], s[24:25], -v[208:209]
	v_add_f64 v[58:59], v[202:203], v[58:59]
	v_mul_f64 v[202:203], v[128:129], s[0:1]
	buffer_store_dword v202, off, s[60:63], 0 offset:272 ; 4-byte Folded Spill
	buffer_store_dword v203, off, s[60:63], 0 offset:276 ; 4-byte Folded Spill
	v_fma_f64 v[202:203], v[122:123], s[18:19], v[202:203]
	v_add_f64 v[56:57], v[202:203], v[56:57]
	v_mul_f64 v[202:203], v[130:131], s[0:1]
	buffer_store_dword v202, off, s[60:63], 0 offset:304 ; 4-byte Folded Spill
	buffer_store_dword v203, off, s[60:63], 0 offset:308 ; 4-byte Folded Spill
	v_fma_f64 v[202:203], v[136:137], s[18:19], -v[202:203]
	v_add_f64 v[58:59], v[202:203], v[58:59]
	v_mul_f64 v[202:203], v[132:133], s[34:35]
	buffer_store_dword v202, off, s[60:63], 0 offset:280 ; 4-byte Folded Spill
	buffer_store_dword v203, off, s[60:63], 0 offset:284 ; 4-byte Folded Spill
	v_fma_f64 v[202:203], v[124:125], s[30:31], v[202:203]
	v_add_f64 v[56:57], v[202:203], v[56:57]
	v_mul_f64 v[202:203], v[134:135], s[34:35]
	buffer_store_dword v202, off, s[60:63], 0 offset:312 ; 4-byte Folded Spill
	buffer_store_dword v203, off, s[60:63], 0 offset:316 ; 4-byte Folded Spill
	s_clause 0x1
	s_load_dwordx2 s[6:7], s[4:5], 0x20
	s_load_dwordx2 s[2:3], s[4:5], 0x8
	s_waitcnt lgkmcnt(0)
	s_waitcnt_vscnt null, 0x0
	s_barrier
	buffer_gl0_inv
	v_fma_f64 v[202:203], v[138:139], s[30:31], -v[202:203]
	v_add_f64 v[58:59], v[202:203], v[58:59]
	s_and_saveexec_b32 s4, vcc_lo
	s_cbranch_execz .LBB0_7
; %bb.6:
	v_add_f64 v[36:37], v[4:5], v[36:37]
	v_add_f64 v[38:39], v[6:7], v[38:39]
	v_mul_f64 v[202:203], v[146:147], s[26:27]
	v_add_f64 v[36:37], v[40:41], v[36:37]
	v_add_f64 v[38:39], v[42:43], v[38:39]
	s_clause 0x1
	buffer_load_dword v42, off, s[60:63], 0 offset:104
	buffer_load_dword v43, off, s[60:63], 0 offset:108
	v_add_f64 v[202:203], v[241:242], v[202:203]
	v_add_f64 v[28:29], v[28:29], v[36:37]
	;; [unrolled: 1-line block ×7, first 2 shown]
	v_mul_f64 v[70:71], v[140:141], s[18:19]
	v_add_f64 v[28:29], v[72:73], v[28:29]
	v_add_f64 v[30:31], v[74:75], v[30:31]
	s_clause 0x1
	buffer_load_dword v72, off, s[60:63], 0 offset:96
	buffer_load_dword v73, off, s[60:63], 0 offset:100
	v_add_f64 v[28:29], v[48:49], v[28:29]
	v_add_f64 v[30:31], v[50:51], v[30:31]
	;; [unrolled: 1-line block ×6, first 2 shown]
	v_mul_f64 v[82:83], v[106:107], s[26:27]
	v_add_f64 v[28:29], v[84:85], v[28:29]
	v_add_f64 v[30:31], v[86:87], v[30:31]
	v_mul_f64 v[86:87], v[112:113], s[30:31]
	v_add_f64 v[28:29], v[44:45], v[28:29]
	v_add_f64 v[30:31], v[46:47], v[30:31]
	v_mul_f64 v[46:47], v[142:143], s[34:35]
	v_mul_f64 v[44:45], v[142:143], s[48:49]
	v_add_f64 v[86:87], v[86:87], -v[204:205]
	v_mul_f64 v[204:205], v[112:113], s[26:27]
	v_add_f64 v[24:25], v[24:25], v[28:29]
	v_add_f64 v[26:27], v[26:27], v[30:31]
	v_fma_f64 v[68:69], v[140:141], s[30:31], v[46:47]
	v_fma_f64 v[46:47], v[140:141], s[30:31], -v[46:47]
	v_fma_f64 v[50:51], v[140:141], s[38:39], v[44:45]
	v_fma_f64 v[44:45], v[140:141], s[38:39], -v[44:45]
	v_add_f64 v[204:205], v[204:205], -v[233:234]
	v_add_f64 v[20:21], v[20:21], v[24:25]
	v_add_f64 v[22:23], v[22:23], v[26:27]
	;; [unrolled: 1-line block ×6, first 2 shown]
	v_mul_f64 v[16:17], v[160:161], s[38:39]
	v_add_f64 v[14:15], v[14:15], v[18:19]
	v_add_f64 v[8:9], v[8:9], v[12:13]
	v_fma_f64 v[18:19], v[162:163], s[40:41], v[16:17]
	v_fma_f64 v[20:21], v[162:163], s[48:49], v[16:17]
	v_mul_f64 v[16:17], v[160:161], s[30:31]
	v_mul_f64 v[12:13], v[160:161], s[36:37]
	v_add_f64 v[10:11], v[10:11], v[14:15]
	v_add_f64 v[18:19], v[6:7], v[18:19]
	;; [unrolled: 1-line block ×3, first 2 shown]
	v_fma_f64 v[22:23], v[162:163], s[58:59], v[16:17]
	v_fma_f64 v[24:25], v[162:163], s[34:35], v[16:17]
	v_mul_f64 v[16:17], v[160:161], s[26:27]
	v_fma_f64 v[14:15], v[162:163], s[50:51], v[12:13]
	v_fma_f64 v[12:13], v[162:163], s[42:43], v[12:13]
	v_mul_f64 v[162:163], v[124:125], s[36:37]
	v_add_f64 v[26:27], v[200:201], v[16:17]
	v_mul_f64 v[16:17], v[140:141], s[26:27]
	v_add_f64 v[74:75], v[6:7], v[12:13]
	v_add_f64 v[12:13], v[4:5], v[68:69]
	v_mul_f64 v[200:201], v[106:107], s[38:39]
	v_add_f64 v[162:163], v[162:163], -v[214:215]
	v_mul_f64 v[214:215], v[124:125], s[18:19]
	v_add_f64 v[26:27], v[6:7], v[26:27]
	v_add_f64 v[28:29], v[16:17], -v[198:199]
	v_mul_f64 v[16:17], v[160:161], s[24:25]
	v_mul_f64 v[198:199], v[144:145], s[38:39]
	v_add_f64 v[200:201], v[200:201], -v[229:230]
	v_add_f64 v[214:215], v[214:215], -v[243:244]
	v_add_f64 v[28:29], v[4:5], v[28:29]
	v_add_f64 v[30:31], v[196:197], v[16:17]
	v_mul_f64 v[16:17], v[140:141], s[24:25]
	v_mul_f64 v[196:197], v[100:101], s[36:37]
	v_add_f64 v[198:199], v[239:240], v[198:199]
	s_waitcnt vmcnt(0)
	v_add_f64 v[70:71], v[70:71], -v[72:73]
	v_add_f64 v[72:73], v[6:7], v[14:15]
	v_add_f64 v[14:15], v[6:7], v[22:23]
	;; [unrolled: 1-line block ×4, first 2 shown]
	s_clause 0x1
	buffer_load_dword v46, off, s[60:63], 0 offset:56
	buffer_load_dword v47, off, s[60:63], 0 offset:60
	v_add_f64 v[30:31], v[6:7], v[30:31]
	v_add_f64 v[32:33], v[16:17], -v[194:195]
	v_mul_f64 v[16:17], v[160:161], s[20:21]
	v_add_f64 v[196:197], v[196:197], -v[225:226]
	v_mul_f64 v[194:195], v[120:121], s[36:37]
	v_add_f64 v[32:33], v[4:5], v[32:33]
	v_add_f64 v[34:35], v[192:193], v[16:17]
	v_mul_f64 v[16:17], v[140:141], s[20:21]
	v_mul_f64 v[192:193], v[92:93], s[30:31]
	v_add_f64 v[194:195], v[237:238], v[194:195]
	v_add_f64 v[34:35], v[6:7], v[34:35]
	v_add_f64 v[36:37], v[16:17], -v[190:191]
	v_mul_f64 v[16:17], v[160:161], s[16:17]
	v_add_f64 v[192:193], v[192:193], -v[221:222]
	v_mul_f64 v[221:222], v[100:101], s[26:27]
	v_mul_f64 v[190:191], v[110:111], s[30:31]
	v_add_f64 v[36:37], v[4:5], v[36:37]
	v_add_f64 v[38:39], v[188:189], v[16:17]
	v_mul_f64 v[16:17], v[140:141], s[16:17]
	v_mul_f64 v[188:189], v[88:89], s[24:25]
	v_add_f64 v[0:1], v[221:222], -v[0:1]
	v_mul_f64 v[221:222], v[106:107], s[16:17]
	v_add_f64 v[190:191], v[231:232], v[190:191]
	v_add_f64 v[38:39], v[6:7], v[38:39]
	v_add_f64 v[40:41], v[16:17], -v[186:187]
	v_mul_f64 v[16:17], v[160:161], s[18:19]
	v_mul_f64 v[160:161], v[138:139], s[36:37]
	;; [unrolled: 1-line block ×3, first 2 shown]
	v_add_f64 v[188:189], v[188:189], -v[219:220]
	v_mul_f64 v[219:220], v[144:145], s[16:17]
	v_add_f64 v[152:153], v[221:222], -v[152:153]
	v_mul_f64 v[221:222], v[146:147], s[18:19]
	v_add_f64 v[40:41], v[4:5], v[40:41]
	v_add_f64 v[42:43], v[42:43], v[16:17]
	v_mul_f64 v[16:17], v[142:143], s[42:43]
	v_add_f64 v[160:161], v[223:224], v[160:161]
	v_mul_f64 v[223:224], v[92:93], s[26:27]
	v_add_f64 v[186:187], v[227:228], v[186:187]
	v_add_f64 v[178:179], v[178:179], v[219:220]
	v_mul_f64 v[219:220], v[92:93], s[36:37]
	v_add_f64 v[174:175], v[174:175], v[221:222]
	v_mul_f64 v[221:222], v[112:113], s[18:19]
	v_mul_f64 v[142:143], v[122:123], s[38:39]
	v_add_f64 v[40:41], v[188:189], v[40:41]
	v_add_f64 v[6:7], v[6:7], v[42:43]
	v_fma_f64 v[48:49], v[140:141], s[36:37], v[16:17]
	v_fma_f64 v[16:17], v[140:141], s[36:37], -v[16:17]
	v_mul_f64 v[140:141], v[136:137], s[38:39]
	v_add_f64 v[158:159], v[223:224], -v[158:159]
	v_mul_f64 v[223:224], v[100:101], s[18:19]
	v_mul_f64 v[42:43], v[102:103], s[16:17]
	v_add_f64 v[219:220], v[219:220], -v[249:250]
	v_add_f64 v[154:155], v[221:222], -v[154:155]
	v_mul_f64 v[221:222], v[136:137], s[24:25]
	v_add_f64 v[142:143], v[142:143], -v[210:211]
	v_mul_f64 v[210:211], v[122:123], s[20:21]
	v_add_f64 v[38:39], v[186:187], v[38:39]
	v_add_f64 v[40:41], v[192:193], v[40:41]
	;; [unrolled: 1-line block ×5, first 2 shown]
	s_clause 0x3
	buffer_load_dword v50, off, s[60:63], 0 offset:8
	buffer_load_dword v51, off, s[60:63], 0 offset:12
	;; [unrolled: 1-line block ×4, first 2 shown]
	v_add_f64 v[4:5], v[4:5], v[70:71]
	s_clause 0x3
	buffer_load_dword v70, off, s[60:63], 0 offset:40
	buffer_load_dword v71, off, s[60:63], 0 offset:44
	;; [unrolled: 1-line block ×4, first 2 shown]
	v_add_f64 v[140:141], v[217:218], v[140:141]
	v_mul_f64 v[217:218], v[102:103], s[30:31]
	v_add_f64 v[164:165], v[223:224], -v[164:165]
	v_mul_f64 v[223:224], v[106:107], s[20:21]
	s_clause 0x3
	buffer_load_dword v80, off, s[60:63], 0 offset:64
	buffer_load_dword v81, off, s[60:63], 0 offset:68
	;; [unrolled: 1-line block ×4, first 2 shown]
	v_add_f64 v[168:169], v[168:169], v[221:222]
	v_mul_f64 v[221:222], v[122:123], s[24:25]
	v_add_f64 v[210:211], v[210:211], -v[235:236]
	v_add_f64 v[38:39], v[190:191], v[38:39]
	v_add_f64 v[40:41], v[196:197], v[40:41]
	;; [unrolled: 1-line block ×3, first 2 shown]
	v_mul_f64 v[217:218], v[110:111], s[36:37]
	v_add_f64 v[170:171], v[223:224], -v[170:171]
	v_mul_f64 v[223:224], v[102:103], s[18:19]
	v_add_f64 v[150:151], v[221:222], -v[150:151]
	v_mul_f64 v[221:222], v[138:139], s[38:39]
	v_add_f64 v[38:39], v[194:195], v[38:39]
	v_add_f64 v[40:41], v[200:201], v[40:41]
	v_add_f64 v[2:3], v[2:3], v[34:35]
	v_add_f64 v[156:157], v[156:157], v[217:218]
	v_mul_f64 v[217:218], v[120:121], s[26:27]
	v_fma_f64 v[225:226], v[90:91], s[0:1], v[223:224]
	v_fma_f64 v[223:224], v[90:91], s[52:53], v[223:224]
	v_add_f64 v[172:173], v[172:173], v[221:222]
	v_mul_f64 v[221:222], v[124:125], s[38:39]
	v_add_f64 v[38:39], v[198:199], v[38:39]
	v_add_f64 v[40:41], v[204:205], v[40:41]
	;; [unrolled: 1-line block ×4, first 2 shown]
	v_mul_f64 v[217:218], v[88:89], s[30:31]
	v_add_f64 v[72:73], v[225:226], v[72:73]
	v_mul_f64 v[225:226], v[94:95], s[52:53]
	v_add_f64 v[74:75], v[223:224], v[74:75]
	v_add_f64 v[148:149], v[221:222], -v[148:149]
	v_mul_f64 v[221:222], v[144:145], s[20:21]
	v_add_f64 v[38:39], v[202:203], v[38:39]
	v_add_f64 v[40:41], v[210:211], v[40:41]
	;; [unrolled: 1-line block ×3, first 2 shown]
	v_add_f64 v[217:218], v[217:218], -v[245:246]
	v_fma_f64 v[227:228], v[88:89], s[18:19], v[225:226]
	v_fma_f64 v[223:224], v[88:89], s[18:19], -v[225:226]
	v_add_f64 v[184:185], v[184:185], v[221:222]
	v_mul_f64 v[221:222], v[102:103], s[36:37]
	v_add_f64 v[2:3], v[178:179], v[2:3]
	v_add_f64 v[34:35], v[217:218], v[36:37]
	v_mul_f64 v[36:37], v[110:111], s[38:39]
	v_add_f64 v[48:49], v[227:228], v[48:49]
	v_add_f64 v[76:77], v[223:224], v[76:77]
	v_mul_f64 v[223:224], v[102:103], s[20:21]
	v_add_f64 v[176:177], v[176:177], v[221:222]
	v_mul_f64 v[221:222], v[110:111], s[26:27]
	v_add_f64 v[2:3], v[174:175], v[2:3]
	v_add_f64 v[34:35], v[219:220], v[34:35]
	v_fma_f64 v[225:226], v[90:91], s[46:47], v[223:224]
	s_waitcnt vmcnt(12)
	v_add_f64 v[42:43], v[46:47], v[42:43]
	v_mul_f64 v[46:47], v[88:89], s[16:17]
	v_add_f64 v[30:31], v[176:177], v[30:31]
	v_add_f64 v[180:181], v[180:181], v[221:222]
	v_mul_f64 v[221:222], v[120:121], s[18:19]
	v_add_f64 v[0:1], v[0:1], v[34:35]
	v_mul_f64 v[34:35], v[144:145], s[30:31]
	v_add_f64 v[20:21], v[225:226], v[20:21]
	v_add_f64 v[6:7], v[42:43], v[6:7]
	v_fma_f64 v[42:43], v[98:99], s[40:41], v[36:37]
	v_fma_f64 v[36:37], v[98:99], s[48:49], v[36:37]
	v_mul_f64 v[225:226], v[94:95], s[46:47]
	v_add_f64 v[182:183], v[182:183], v[221:222]
	v_mul_f64 v[221:222], v[88:89], s[36:37]
	v_add_f64 v[30:31], v[180:181], v[30:31]
	v_mul_f64 v[94:95], v[94:95], s[44:45]
	v_add_f64 v[0:1], v[152:153], v[0:1]
	v_add_f64 v[42:43], v[42:43], v[72:73]
	v_add_f64 v[36:37], v[36:37], v[74:75]
	v_fma_f64 v[227:228], v[88:89], s[20:21], -v[225:226]
	v_add_f64 v[221:222], v[221:222], -v[251:252]
	v_add_f64 v[30:31], v[182:183], v[30:31]
	v_add_f64 v[0:1], v[154:155], v[0:1]
	;; [unrolled: 1-line block ×6, first 2 shown]
	s_waitcnt vmcnt(10)
	v_add_f64 v[46:47], v[46:47], -v[50:51]
	v_mul_f64 v[50:51], v[110:111], s[20:21]
	s_waitcnt vmcnt(0)
	v_add_f64 v[82:83], v[82:83], -v[84:85]
	v_mul_f64 v[84:85], v[146:147], s[30:31]
	v_add_f64 v[4:5], v[46:47], v[4:5]
	v_add_f64 v[50:51], v[68:69], v[50:51]
	v_mul_f64 v[68:69], v[92:93], s[20:21]
	v_mul_f64 v[46:47], v[96:97], s[48:49]
	v_add_f64 v[84:85], v[212:213], v[84:85]
	v_mul_f64 v[212:213], v[138:139], s[18:19]
	v_add_f64 v[6:7], v[50:51], v[6:7]
	v_add_f64 v[68:69], v[68:69], -v[70:71]
	v_fma_f64 v[72:73], v[92:93], s[38:39], v[46:47]
	v_mul_f64 v[50:51], v[120:121], s[16:17]
	v_mul_f64 v[70:71], v[120:121], s[24:25]
	v_fma_f64 v[46:47], v[92:93], s[38:39], -v[46:47]
	v_add_f64 v[212:213], v[253:254], v[212:213]
	v_add_f64 v[4:5], v[68:69], v[4:5]
	;; [unrolled: 1-line block ×3, first 2 shown]
	v_mul_f64 v[72:73], v[110:111], s[24:25]
	v_fma_f64 v[68:69], v[104:105], s[10:11], v[50:51]
	v_fma_f64 v[50:51], v[104:105], s[54:55], v[50:51]
	v_add_f64 v[70:71], v[78:79], v[70:71]
	v_add_f64 v[46:47], v[46:47], v[76:77]
	v_mul_f64 v[78:79], v[100:101], s[24:25]
	v_fma_f64 v[74:75], v[98:99], s[22:23], v[72:73]
	v_add_f64 v[42:43], v[68:69], v[42:43]
	v_mul_f64 v[68:69], v[108:109], s[54:55]
	v_add_f64 v[36:37], v[50:51], v[36:37]
	v_add_f64 v[6:7], v[70:71], v[6:7]
	v_fma_f64 v[70:71], v[118:119], s[58:59], v[34:35]
	v_fma_f64 v[34:35], v[118:119], s[34:35], v[34:35]
	v_add_f64 v[78:79], v[78:79], -v[80:81]
	v_mul_f64 v[80:81], v[144:145], s[26:27]
	v_fma_f64 v[72:73], v[98:99], s[56:57], v[72:73]
	v_add_f64 v[20:21], v[74:75], v[20:21]
	v_mul_f64 v[74:75], v[96:97], s[22:23]
	v_fma_f64 v[50:51], v[100:101], s[16:17], -v[68:69]
	v_mul_f64 v[96:97], v[96:97], s[0:1]
	v_add_f64 v[42:43], v[70:71], v[42:43]
	v_mul_f64 v[70:71], v[114:115], s[34:35]
	v_add_f64 v[34:35], v[34:35], v[36:37]
	v_add_f64 v[4:5], v[78:79], v[4:5]
	;; [unrolled: 1-line block ×3, first 2 shown]
	v_mul_f64 v[206:207], v[136:137], s[20:21]
	v_fma_f64 v[76:77], v[92:93], s[24:25], -v[74:75]
	v_add_f64 v[46:47], v[50:51], v[46:47]
	v_mul_f64 v[50:51], v[120:121], s[30:31]
	v_fma_f64 v[36:37], v[106:107], s[30:31], -v[70:71]
	v_add_f64 v[4:5], v[82:83], v[4:5]
	v_add_f64 v[6:7], v[80:81], v[6:7]
	;; [unrolled: 1-line block ×4, first 2 shown]
	v_fma_f64 v[76:77], v[100:101], s[16:17], v[68:69]
	v_fma_f64 v[68:69], v[104:105], s[58:59], v[50:51]
	;; [unrolled: 1-line block ×3, first 2 shown]
	v_add_f64 v[36:37], v[36:37], v[46:47]
	v_mul_f64 v[46:47], v[144:145], s[18:19]
	v_add_f64 v[4:5], v[86:87], v[4:5]
	v_add_f64 v[6:7], v[84:85], v[6:7]
	;; [unrolled: 1-line block ×5, first 2 shown]
	v_mul_f64 v[68:69], v[108:109], s[58:59]
	v_mul_f64 v[108:109], v[108:109], s[48:49]
	v_add_f64 v[86:87], v[142:143], v[4:5]
	v_mul_f64 v[4:5], v[112:113], s[38:39]
	v_add_f64 v[142:143], v[150:151], v[0:1]
	v_mul_f64 v[0:1], v[146:147], s[38:39]
	v_fma_f64 v[76:77], v[100:101], s[30:31], -v[68:69]
	v_add_f64 v[44:45], v[76:77], v[44:45]
	v_fma_f64 v[76:77], v[106:107], s[30:31], v[70:71]
	v_fma_f64 v[70:71], v[118:119], s[0:1], v[46:47]
	v_add_f64 v[48:49], v[76:77], v[48:49]
	v_add_f64 v[20:21], v[70:71], v[20:21]
	v_mul_f64 v[70:71], v[114:115], s[0:1]
	v_fma_f64 v[76:77], v[106:107], s[18:19], -v[70:71]
	v_add_f64 v[44:45], v[76:77], v[44:45]
	v_mul_f64 v[76:77], v[146:147], s[20:21]
	v_fma_f64 v[78:79], v[126:127], s[8:9], v[76:77]
	v_fma_f64 v[76:77], v[126:127], s[46:47], v[76:77]
	v_add_f64 v[42:43], v[78:79], v[42:43]
	v_mul_f64 v[78:79], v[116:117], s[46:47]
	v_add_f64 v[34:35], v[76:77], v[34:35]
	v_fma_f64 v[76:77], v[112:113], s[20:21], -v[78:79]
	v_fma_f64 v[80:81], v[112:113], s[20:21], v[78:79]
	v_add_f64 v[36:37], v[76:77], v[36:37]
	v_mul_f64 v[76:77], v[146:147], s[36:37]
	v_add_f64 v[48:49], v[80:81], v[48:49]
	v_fma_f64 v[78:79], v[126:127], s[42:43], v[76:77]
	v_add_f64 v[20:21], v[78:79], v[20:21]
	v_mul_f64 v[78:79], v[116:117], s[42:43]
	v_fma_f64 v[80:81], v[112:113], s[36:37], -v[78:79]
	v_add_f64 v[44:45], v[80:81], v[44:45]
	v_mul_f64 v[80:81], v[136:137], s[26:27]
	v_fma_f64 v[82:83], v[130:131], s[44:45], v[80:81]
	v_fma_f64 v[80:81], v[130:131], s[28:29], v[80:81]
	v_add_f64 v[42:43], v[82:83], v[42:43]
	v_mul_f64 v[82:83], v[128:129], s[28:29]
	v_add_f64 v[34:35], v[80:81], v[34:35]
	v_fma_f64 v[80:81], v[122:123], s[26:27], -v[82:83]
	v_fma_f64 v[84:85], v[122:123], s[26:27], v[82:83]
	v_add_f64 v[36:37], v[80:81], v[36:37]
	v_mul_f64 v[80:81], v[136:137], s[16:17]
	v_add_f64 v[48:49], v[84:85], v[48:49]
	v_fma_f64 v[82:83], v[130:131], s[54:55], v[80:81]
	v_add_f64 v[20:21], v[82:83], v[20:21]
	v_mul_f64 v[82:83], v[128:129], s[54:55]
	v_fma_f64 v[84:85], v[122:123], s[16:17], -v[82:83]
	v_add_f64 v[44:45], v[84:85], v[44:45]
	v_add_f64 v[84:85], v[140:141], v[6:7]
	;; [unrolled: 1-line block ×3, first 2 shown]
	s_clause 0x3
	buffer_load_dword v2, off, s[60:63], 0 offset:216
	buffer_load_dword v3, off, s[60:63], 0 offset:220
	;; [unrolled: 1-line block ×4, first 2 shown]
	s_waitcnt vmcnt(2)
	v_add_f64 v[0:1], v[2:3], v[0:1]
	s_waitcnt vmcnt(0)
	v_add_f64 v[4:5], v[4:5], -v[6:7]
	v_add_f64 v[6:7], v[170:171], v[32:33]
	s_clause 0x1
	buffer_load_dword v32, off, s[60:63], 0 offset:232
	buffer_load_dword v33, off, s[60:63], 0 offset:236
	v_add_f64 v[2:3], v[184:185], v[30:31]
	v_mul_f64 v[30:31], v[136:137], s[30:31]
	v_add_f64 v[4:5], v[4:5], v[6:7]
	v_mul_f64 v[6:7], v[138:139], s[16:17]
	v_add_f64 v[0:1], v[0:1], v[2:3]
	v_mul_f64 v[2:3], v[122:123], s[30:31]
	s_waitcnt vmcnt(0)
	v_add_f64 v[30:31], v[32:33], v[30:31]
	s_clause 0x1
	buffer_load_dword v32, off, s[60:63], 0 offset:144
	buffer_load_dword v33, off, s[60:63], 0 offset:148
	v_add_f64 v[30:31], v[30:31], v[0:1]
	v_mul_f64 v[0:1], v[124:125], s[16:17]
	s_waitcnt vmcnt(0)
	v_add_f64 v[2:3], v[2:3], -v[32:33]
	s_clause 0x1
	buffer_load_dword v32, off, s[60:63], 0 offset:248
	buffer_load_dword v33, off, s[60:63], 0 offset:252
	v_add_f64 v[152:153], v[2:3], v[4:5]
	s_waitcnt vmcnt(0)
	v_add_f64 v[32:33], v[32:33], v[6:7]
	s_clause 0x5
	buffer_load_dword v6, off, s[60:63], 0 offset:160
	buffer_load_dword v7, off, s[60:63], 0 offset:164
	;; [unrolled: 1-line block ×6, first 2 shown]
	v_add_f64 v[30:31], v[32:33], v[30:31]
	s_waitcnt vmcnt(4)
	v_add_f64 v[150:151], v[0:1], -v[6:7]
	s_clause 0x1
	buffer_load_dword v6, off, s[60:63], 0 offset:320
	buffer_load_dword v7, off, s[60:63], 0 offset:324
	v_mul_f64 v[0:1], v[102:103], s[38:39]
	s_waitcnt vmcnt(4)
	v_add_f64 v[0:1], v[2:3], v[0:1]
	v_mul_f64 v[2:3], v[110:111], s[16:17]
	v_add_f64 v[0:1], v[0:1], v[26:27]
	s_waitcnt vmcnt(2)
	v_add_f64 v[2:3], v[4:5], v[2:3]
	v_mul_f64 v[4:5], v[120:121], s[20:21]
	v_add_f64 v[0:1], v[2:3], v[0:1]
	v_mul_f64 v[2:3], v[144:145], s[36:37]
	s_waitcnt vmcnt(0)
	v_add_f64 v[4:5], v[6:7], v[4:5]
	s_clause 0x1
	buffer_load_dword v6, off, s[60:63], 0 offset:328
	buffer_load_dword v7, off, s[60:63], 0 offset:332
	v_add_f64 v[0:1], v[4:5], v[0:1]
	v_mul_f64 v[4:5], v[146:147], s[24:25]
	v_add_f64 v[4:5], v[208:209], v[4:5]
	s_waitcnt vmcnt(0)
	v_add_f64 v[2:3], v[6:7], v[2:3]
	s_clause 0x3
	buffer_load_dword v6, off, s[60:63], 0 offset:112
	buffer_load_dword v7, off, s[60:63], 0 offset:116
	;; [unrolled: 1-line block ×4, first 2 shown]
	v_add_f64 v[0:1], v[2:3], v[0:1]
	v_mul_f64 v[2:3], v[88:89], s[38:39]
	v_add_f64 v[0:1], v[4:5], v[0:1]
	v_mul_f64 v[4:5], v[122:123], s[18:19]
	s_waitcnt vmcnt(2)
	v_add_f64 v[2:3], v[2:3], -v[6:7]
	v_mul_f64 v[6:7], v[92:93], s[16:17]
	v_add_f64 v[2:3], v[2:3], v[28:29]
	s_clause 0x1
	buffer_load_dword v28, off, s[60:63], 0 offset:176
	buffer_load_dword v29, off, s[60:63], 0 offset:180
	s_waitcnt vmcnt(2)
	v_add_f64 v[6:7], v[6:7], -v[26:27]
	v_mul_f64 v[26:27], v[100:101], s[20:21]
	v_add_f64 v[2:3], v[6:7], v[2:3]
	v_mul_f64 v[6:7], v[106:107], s[36:37]
	s_waitcnt vmcnt(0)
	v_add_f64 v[26:27], v[26:27], -v[28:29]
	s_clause 0x1
	buffer_load_dword v28, off, s[60:63], 0 offset:192
	buffer_load_dword v29, off, s[60:63], 0 offset:196
	v_add_f64 v[2:3], v[26:27], v[2:3]
	v_mul_f64 v[26:27], v[112:113], s[24:25]
	s_waitcnt vmcnt(0)
	v_add_f64 v[6:7], v[6:7], -v[28:29]
	s_clause 0x1
	buffer_load_dword v28, off, s[60:63], 0 offset:264
	buffer_load_dword v29, off, s[60:63], 0 offset:268
	;; [unrolled: 7-line block ×3, first 2 shown]
	v_add_f64 v[2:3], v[26:27], v[2:3]
	v_mul_f64 v[26:27], v[138:139], s[30:31]
	s_waitcnt vmcnt(0)
	v_add_f64 v[6:7], v[28:29], v[6:7]
	s_clause 0x1
	buffer_load_dword v28, off, s[60:63], 0 offset:272
	buffer_load_dword v29, off, s[60:63], 0 offset:276
	v_add_f64 v[156:157], v[6:7], v[0:1]
	v_mul_f64 v[0:1], v[124:125], s[30:31]
	s_waitcnt vmcnt(0)
	v_add_f64 v[4:5], v[4:5], -v[28:29]
	s_clause 0x3
	buffer_load_dword v28, off, s[60:63], 0 offset:312
	buffer_load_dword v29, off, s[60:63], 0 offset:316
	;; [unrolled: 1-line block ×4, first 2 shown]
	s_waitcnt vmcnt(2)
	v_add_f64 v[154:155], v[28:29], v[26:27]
	s_waitcnt vmcnt(0)
	v_add_f64 v[158:159], v[0:1], -v[6:7]
	v_mul_f64 v[0:1], v[102:103], s[26:27]
	v_fma_f64 v[6:7], v[90:91], s[44:45], v[0:1]
	v_fma_f64 v[0:1], v[90:91], s[28:29], v[0:1]
	v_add_f64 v[6:7], v[6:7], v[22:23]
	v_mul_f64 v[22:23], v[110:111], s[18:19]
	v_add_f64 v[0:1], v[0:1], v[14:15]
	v_fma_f64 v[14:15], v[100:101], s[30:31], v[68:69]
	v_mul_f64 v[68:69], v[138:139], s[24:25]
	v_fma_f64 v[26:27], v[98:99], s[0:1], v[22:23]
	v_fma_f64 v[22:23], v[98:99], s[52:53], v[22:23]
	v_add_f64 v[6:7], v[26:27], v[6:7]
	v_mul_f64 v[26:27], v[120:121], s[38:39]
	v_add_f64 v[0:1], v[22:23], v[0:1]
	v_fma_f64 v[22:23], v[118:119], s[52:53], v[46:47]
	v_fma_f64 v[46:47], v[112:113], s[36:37], v[78:79]
	v_mul_f64 v[78:79], v[132:133], s[46:47]
	v_fma_f64 v[28:29], v[104:105], s[48:49], v[26:27]
	v_fma_f64 v[26:27], v[104:105], s[40:41], v[26:27]
	v_add_f64 v[6:7], v[28:29], v[6:7]
	v_mul_f64 v[28:29], v[144:145], s[24:25]
	v_add_f64 v[0:1], v[26:27], v[0:1]
	v_fma_f64 v[26:27], v[106:107], s[18:19], v[70:71]
	v_mul_f64 v[70:71], v[128:129], s[42:43]
	v_fma_f64 v[102:103], v[118:119], s[56:57], v[28:29]
	v_add_f64 v[6:7], v[102:103], v[6:7]
	v_mul_f64 v[102:103], v[146:147], s[16:17]
	v_fma_f64 v[110:111], v[126:127], s[10:11], v[102:103]
	v_add_f64 v[6:7], v[110:111], v[6:7]
	v_fma_f64 v[110:111], v[88:89], s[26:27], -v[94:95]
	v_add_f64 v[24:25], v[110:111], v[24:25]
	v_fma_f64 v[110:111], v[92:93], s[18:19], -v[96:97]
	;; [unrolled: 2-line block ×3, first 2 shown]
	v_add_f64 v[24:25], v[110:111], v[24:25]
	v_mul_f64 v[110:111], v[114:115], s[56:57]
	v_fma_f64 v[114:115], v[106:107], s[24:25], -v[110:111]
	v_add_f64 v[24:25], v[114:115], v[24:25]
	v_fma_f64 v[114:115], v[90:91], s[8:9], v[223:224]
	v_add_f64 v[18:19], v[114:115], v[18:19]
	v_fma_f64 v[114:115], v[88:89], s[20:21], v[225:226]
	v_add_f64 v[18:19], v[72:73], v[18:19]
	v_add_f64 v[16:17], v[114:115], v[16:17]
	v_fma_f64 v[72:73], v[92:93], s[24:25], v[74:75]
	v_fma_f64 v[74:75], v[134:135], s[22:23], v[68:69]
	;; [unrolled: 1-line block ×3, first 2 shown]
	v_add_f64 v[18:19], v[50:51], v[18:19]
	v_fma_f64 v[50:51], v[88:89], s[26:27], v[94:95]
	v_add_f64 v[16:17], v[72:73], v[16:17]
	v_fma_f64 v[72:73], v[130:131], s[10:11], v[80:81]
	v_fma_f64 v[80:81], v[122:123], s[16:17], v[82:83]
	v_add_f64 v[88:89], v[4:5], v[2:3]
	v_add_f64 v[2:3], v[74:75], v[42:43]
	v_fma_f64 v[94:95], v[124:125], s[20:21], -v[78:79]
	v_fma_f64 v[78:79], v[124:125], s[20:21], v[78:79]
	v_add_f64 v[18:19], v[22:23], v[18:19]
	v_add_f64 v[12:13], v[50:51], v[12:13]
	;; [unrolled: 1-line block ×3, first 2 shown]
	v_fma_f64 v[16:17], v[92:93], s[18:19], v[96:97]
	v_fma_f64 v[22:23], v[118:119], s[22:23], v[28:29]
	v_mul_f64 v[50:51], v[136:137], s[36:37]
	v_fma_f64 v[28:29], v[126:127], s[54:55], v[102:103]
	v_add_f64 v[32:33], v[158:159], v[88:89]
	v_add_f64 v[14:15], v[26:27], v[14:15]
	v_fma_f64 v[26:27], v[126:127], s[50:51], v[76:77]
	v_add_f64 v[12:13], v[16:17], v[12:13]
	v_fma_f64 v[16:17], v[100:101], s[38:39], v[108:109]
	v_add_f64 v[0:1], v[22:23], v[0:1]
	v_mul_f64 v[22:23], v[116:117], s[10:11]
	v_mul_f64 v[76:77], v[138:139], s[20:21]
	v_add_f64 v[14:15], v[46:47], v[14:15]
	v_add_f64 v[18:19], v[26:27], v[18:19]
	v_mul_f64 v[26:27], v[138:139], s[26:27]
	v_add_f64 v[12:13], v[16:17], v[12:13]
	v_fma_f64 v[16:17], v[106:107], s[24:25], v[110:111]
	v_fma_f64 v[46:47], v[130:131], s[42:43], v[50:51]
	v_add_f64 v[0:1], v[28:29], v[0:1]
	v_mul_f64 v[28:29], v[132:133], s[28:29]
	v_fma_f64 v[50:51], v[130:131], s[50:51], v[50:51]
	v_fma_f64 v[74:75], v[134:135], s[46:47], v[76:77]
	;; [unrolled: 1-line block ×3, first 2 shown]
	v_add_f64 v[80:81], v[80:81], v[14:15]
	v_add_f64 v[72:73], v[72:73], v[18:19]
	v_fma_f64 v[90:91], v[134:135], s[28:29], v[26:27]
	v_fma_f64 v[96:97], v[134:135], s[44:45], v[26:27]
	v_add_f64 v[12:13], v[16:17], v[12:13]
	v_fma_f64 v[16:17], v[112:113], s[16:17], -v[22:23]
	v_fma_f64 v[22:23], v[112:113], s[16:17], v[22:23]
	v_add_f64 v[46:47], v[46:47], v[6:7]
	v_fma_f64 v[92:93], v[124:125], s[26:27], -v[28:29]
	v_fma_f64 v[98:99], v[124:125], s[26:27], v[28:29]
	v_add_f64 v[50:51], v[50:51], v[0:1]
	v_add_f64 v[18:19], v[160:161], v[84:85]
	;; [unrolled: 1-line block ×8, first 2 shown]
	buffer_load_dword v40, off, s[60:63], 0 ; 4-byte Folded Reload
	v_add_f64 v[16:17], v[16:17], v[24:25]
	v_mul_f64 v[24:25], v[132:133], s[56:57]
	v_add_f64 v[12:13], v[22:23], v[12:13]
	v_fma_f64 v[22:23], v[122:123], s[36:37], -v[70:71]
	v_fma_f64 v[70:71], v[122:123], s[36:37], v[70:71]
	v_fma_f64 v[82:83], v[124:125], s[24:25], v[24:25]
	v_fma_f64 v[24:25], v[124:125], s[24:25], -v[24:25]
	v_add_f64 v[42:43], v[22:23], v[16:17]
	v_add_f64 v[70:71], v[70:71], v[12:13]
	;; [unrolled: 1-line block ×13, first 2 shown]
	s_waitcnt vmcnt(0)
	v_mul_lo_u16 v48, v40, 17
	v_add_f64 v[40:41], v[98:99], v[80:81]
	v_and_b32_e32 v48, 0xffff, v48
	v_add_lshl_u32 v48, v216, v48, 4
	ds_write_b128 v48, v[8:11]
	ds_write_b128 v48, v[16:19] offset:16
	ds_write_b128 v48, v[20:23] offset:32
	;; [unrolled: 1-line block ×15, first 2 shown]
	s_clause 0x3
	buffer_load_dword v0, off, s[60:63], 0 offset:24
	buffer_load_dword v1, off, s[60:63], 0 offset:28
	;; [unrolled: 1-line block ×4, first 2 shown]
	s_waitcnt vmcnt(0)
	ds_write_b128 v48, v[0:3] offset:256
.LBB0_7:
	s_or_b32 exec_lo, exec_lo, s4
	buffer_load_dword v0, off, s[60:63], 0  ; 4-byte Folded Reload
	s_waitcnt vmcnt(0) lgkmcnt(0)
	s_barrier
	buffer_gl0_inv
	v_add_lshl_u32 v255, v216, v0, 4
	v_cmp_gt_u16_e64 s0, 34, v0
	ds_read_b128 v[68:71], v255
	ds_read_b128 v[72:75], v255 offset:1088
	ds_read_b128 v[96:99], v255 offset:7616
	;; [unrolled: 1-line block ×11, first 2 shown]
	s_and_saveexec_b32 s1, s0
	s_cbranch_execz .LBB0_9
; %bb.8:
	ds_read_b128 v[56:59], v255 offset:3264
	ds_read_b128 v[60:63], v255 offset:7072
	;; [unrolled: 1-line block ×4, first 2 shown]
.LBB0_9:
	s_or_b32 exec_lo, exec_lo, s1
	buffer_load_dword v4, off, s[60:63], 0  ; 4-byte Folded Reload
	v_mov_b32_e32 v10, 0xf0f1
	s_waitcnt vmcnt(0)
	v_and_b32_e32 v0, 0xff, v4
	v_add_nc_u16 v1, v4, 0x44
	v_add_nc_u16 v8, v4, 0x88
	;; [unrolled: 1-line block ×3, first 2 shown]
	v_mul_lo_u16 v0, 0xf1, v0
	v_and_b32_e32 v2, 0xff, v1
	v_and_b32_e32 v12, 0xff, v8
	v_mul_u32_u24_sdwa v11, v9, v10 dst_sel:DWORD dst_unused:UNUSED_PAD src0_sel:WORD_0 src1_sel:DWORD
	v_lshrrev_b16 v15, 12, v0
	v_mul_lo_u16 v0, 0xf1, v2
	v_mul_lo_u16 v2, 0xf1, v12
	v_lshrrev_b32_e32 v16, 20, v11
	v_mul_lo_u16 v3, v15, 17
	v_lshrrev_b16 v17, 12, v0
	v_lshrrev_b16 v18, 12, v2
	v_mul_lo_u16 v2, v16, 17
	v_sub_nc_u16 v0, v4, v3
	v_mul_lo_u16 v3, v17, 17
	v_mul_lo_u16 v4, v18, 17
	v_sub_nc_u16 v146, v9, v2
	v_and_b32_e32 v19, 0xff, v0
	v_sub_nc_u16 v2, v1, v3
	v_sub_nc_u16 v3, v8, v4
	v_mul_lo_u16 v6, v146, 48
	v_mad_u64_u32 v[0:1], null, v19, 48, s[2:3]
	v_and_b32_e32 v147, 0xff, v2
	v_and_b32_e32 v148, 0xff, v3
	s_clause 0x1
	global_load_dwordx4 v[32:35], v[0:1], off offset:16
	global_load_dwordx4 v[48:51], v[0:1], off
	v_mad_u64_u32 v[2:3], null, v147, 48, s[2:3]
	v_mad_u64_u32 v[4:5], null, v148, 48, s[2:3]
	s_clause 0x5
	global_load_dwordx4 v[44:47], v[0:1], off offset:32
	global_load_dwordx4 v[40:43], v[2:3], off
	global_load_dwordx4 v[36:39], v[2:3], off offset:16
	global_load_dwordx4 v[24:27], v[2:3], off offset:32
	;; [unrolled: 1-line block ×3, first 2 shown]
	global_load_dwordx4 v[28:31], v[4:5], off
	v_and_b32_e32 v0, 0xffff, v6
	v_add_co_u32 v0, s1, s2, v0
	v_add_co_ci_u32_e64 v1, null, s3, 0, s1
	s_clause 0x3
	global_load_dwordx4 v[20:23], v[4:5], off offset:32
	global_load_dwordx4 v[153:156], v[0:1], off offset:16
	;; [unrolled: 1-line block ×3, first 2 shown]
	global_load_dwordx4 v[157:160], v[0:1], off
	s_waitcnt vmcnt(11) lgkmcnt(9)
	v_mul_f64 v[4:5], v[98:99], v[34:35]
	s_waitcnt vmcnt(10) lgkmcnt(7)
	v_mul_f64 v[0:1], v[110:111], v[50:51]
	v_mul_f64 v[2:3], v[108:109], v[50:51]
	;; [unrolled: 1-line block ×3, first 2 shown]
	s_waitcnt vmcnt(7)
	v_mul_f64 v[122:123], v[82:83], v[38:39]
	s_waitcnt vmcnt(6) lgkmcnt(1)
	v_mul_f64 v[126:127], v[106:107], v[26:27]
	v_mul_f64 v[118:119], v[102:103], v[42:43]
	;; [unrolled: 1-line block ×7, first 2 shown]
	s_waitcnt vmcnt(4)
	v_mul_f64 v[130:131], v[86:87], v[30:31]
	v_mul_f64 v[134:135], v[90:91], v[163:164]
	;; [unrolled: 1-line block ×4, first 2 shown]
	s_waitcnt vmcnt(3) lgkmcnt(0)
	v_mul_f64 v[138:139], v[94:95], v[22:23]
	s_waitcnt vmcnt(2)
	v_mul_f64 v[142:143], v[66:67], v[155:156]
	v_mul_f64 v[140:141], v[92:93], v[22:23]
	;; [unrolled: 1-line block ×3, first 2 shown]
	v_fma_f64 v[108:109], v[108:109], v[48:49], -v[0:1]
	v_fma_f64 v[0:1], v[96:97], v[32:33], -v[4:5]
	buffer_store_dword v32, off, s[60:63], 0 offset:176 ; 4-byte Folded Spill
	buffer_store_dword v33, off, s[60:63], 0 offset:180 ; 4-byte Folded Spill
	;; [unrolled: 1-line block ×4, first 2 shown]
	v_fma_f64 v[2:3], v[110:111], v[48:49], v[2:3]
	s_waitcnt vmcnt(0)
	v_mul_f64 v[110:111], v[62:63], v[159:160]
	v_fma_f64 v[80:81], v[80:81], v[36:37], -v[122:123]
	buffer_store_dword v36, off, s[60:63], 0 offset:192 ; 4-byte Folded Spill
	buffer_store_dword v37, off, s[60:63], 0 offset:196 ; 4-byte Folded Spill
	;; [unrolled: 1-line block ×4, first 2 shown]
	v_fma_f64 v[96:97], v[100:101], v[40:41], -v[118:119]
	v_fma_f64 v[100:101], v[104:105], v[24:25], -v[126:127]
	buffer_store_dword v24, off, s[60:63], 0 offset:144 ; 4-byte Folded Spill
	buffer_store_dword v25, off, s[60:63], 0 offset:148 ; 4-byte Folded Spill
	;; [unrolled: 1-line block ×4, first 2 shown]
	v_mul_f64 v[104:105], v[54:55], v[151:152]
	v_fma_f64 v[84:85], v[84:85], v[28:29], -v[130:131]
	buffer_store_dword v28, off, s[60:63], 0 offset:160 ; 4-byte Folded Spill
	buffer_store_dword v29, off, s[60:63], 0 offset:164 ; 4-byte Folded Spill
	buffer_store_dword v30, off, s[60:63], 0 offset:168 ; 4-byte Folded Spill
	buffer_store_dword v31, off, s[60:63], 0 offset:172 ; 4-byte Folded Spill
	v_fma_f64 v[88:89], v[88:89], v[161:162], -v[134:135]
	buffer_store_dword v161, off, s[60:63], 0 offset:40 ; 4-byte Folded Spill
	buffer_store_dword v162, off, s[60:63], 0 offset:44 ; 4-byte Folded Spill
	buffer_store_dword v163, off, s[60:63], 0 offset:48 ; 4-byte Folded Spill
	buffer_store_dword v164, off, s[60:63], 0 offset:52 ; 4-byte Folded Spill
	;; [unrolled: 5-line block ×4, first 2 shown]
	v_add_f64 v[88:89], v[76:77], -v[88:89]
	v_add_f64 v[92:93], v[84:85], -v[92:93]
	v_fma_f64 v[4:5], v[98:99], v[32:33], v[6:7]
	v_fma_f64 v[6:7], v[112:113], v[44:45], -v[13:14]
	v_fma_f64 v[13:14], v[114:115], v[44:45], v[116:117]
	v_fma_f64 v[98:99], v[102:103], v[40:41], v[120:121]
	v_mul_f64 v[112:113], v[60:61], v[159:160]
	v_fma_f64 v[82:83], v[82:83], v[36:37], v[124:125]
	v_add_f64 v[114:115], v[68:69], -v[0:1]
	v_add_f64 v[0:1], v[56:57], -v[64:65]
	v_fma_f64 v[102:103], v[106:107], v[24:25], v[128:129]
	v_mul_f64 v[106:107], v[52:53], v[151:152]
	v_fma_f64 v[52:53], v[52:53], v[149:150], -v[104:105]
	buffer_store_dword v149, off, s[60:63], 0 offset:216 ; 4-byte Folded Spill
	buffer_store_dword v150, off, s[60:63], 0 offset:220 ; 4-byte Folded Spill
	;; [unrolled: 1-line block ×4, first 2 shown]
	v_fma_f64 v[86:87], v[86:87], v[28:29], v[132:133]
	v_fma_f64 v[90:91], v[90:91], v[161:162], v[136:137]
	;; [unrolled: 1-line block ×4, first 2 shown]
	v_add_f64 v[116:117], v[70:71], -v[4:5]
	v_add_f64 v[4:5], v[108:109], -v[6:7]
	;; [unrolled: 1-line block ×7, first 2 shown]
	v_fma_f64 v[102:103], v[60:61], v[157:158], -v[110:111]
	buffer_store_dword v157, off, s[60:63], 0 offset:248 ; 4-byte Folded Spill
	buffer_store_dword v158, off, s[60:63], 0 offset:252 ; 4-byte Folded Spill
	;; [unrolled: 1-line block ×4, first 2 shown]
	s_load_dwordx4 s[4:7], s[6:7], 0x0
	v_add_f64 v[90:91], v[78:79], -v[90:91]
	v_add_f64 v[94:95], v[86:87], -v[94:95]
	v_fma_f64 v[110:111], v[70:71], 2.0, -v[116:117]
	v_fma_f64 v[64:65], v[108:109], 2.0, -v[4:5]
	v_fma_f64 v[108:109], v[72:73], 2.0, -v[13:14]
	v_fma_f64 v[70:71], v[96:97], 2.0, -v[80:81]
	v_fma_f64 v[96:97], v[76:77], 2.0, -v[88:89]
	v_fma_f64 v[76:77], v[84:85], 2.0, -v[92:93]
	v_add_f64 v[60:61], v[13:14], -v[100:101]
	v_add_f64 v[118:119], v[102:103], -v[52:53]
	;; [unrolled: 1-line block ×4, first 2 shown]
	v_add_f64 v[70:71], v[90:91], v[92:93]
	v_add_f64 v[76:77], v[96:97], -v[76:77]
	v_fma_f64 v[92:93], v[108:109], 2.0, -v[72:73]
	v_fma_f64 v[96:97], v[96:97], 2.0, -v[76:77]
	v_fma_f64 v[54:55], v[54:55], v[149:150], v[106:107]
	v_fma_f64 v[106:107], v[68:69], 2.0, -v[114:115]
	v_fma_f64 v[68:69], v[2:3], 2.0, -v[6:7]
	v_add_f64 v[2:3], v[58:59], -v[66:67]
	v_fma_f64 v[104:105], v[62:63], v[157:158], v[112:113]
	v_fma_f64 v[112:113], v[74:75], 2.0, -v[82:83]
	v_fma_f64 v[74:75], v[98:99], 2.0, -v[100:101]
	;; [unrolled: 1-line block ×4, first 2 shown]
	v_add_f64 v[64:65], v[106:107], -v[64:65]
	v_add_f64 v[66:67], v[110:111], -v[68:69]
	v_fma_f64 v[6:7], v[58:59], 2.0, -v[2:3]
	v_fma_f64 v[100:101], v[102:103], 2.0, -v[118:119]
	v_add_f64 v[62:63], v[82:83], v[80:81]
	v_add_f64 v[68:69], v[88:89], -v[94:95]
	v_mov_b32_e32 v86, 0x44
	v_add_f64 v[126:127], v[2:3], v[118:119]
	v_fma_f64 v[80:81], v[13:14], 2.0, -v[60:61]
	v_fma_f64 v[90:91], v[90:91], 2.0, -v[70:71]
	v_mad_u16 v14, 0x44, v16, v146
	v_mul_u32_u24_sdwa v15, v15, v86 dst_sel:DWORD dst_unused:UNUSED_PAD src0_sel:WORD_0 src1_sel:DWORD
	v_mul_u32_u24_sdwa v17, v17, v86 dst_sel:DWORD dst_unused:UNUSED_PAD src0_sel:WORD_0 src1_sel:DWORD
	;; [unrolled: 1-line block ×3, first 2 shown]
	buffer_store_dword v14, off, s[60:63], 0 offset:56 ; 4-byte Folded Spill
	v_add_nc_u32_e32 v15, v15, v19
	v_add_f64 v[84:85], v[104:105], -v[54:55]
	v_add_f64 v[54:55], v[116:117], v[4:5]
	v_fma_f64 v[4:5], v[56:57], 2.0, -v[0:1]
	v_add_f64 v[74:75], v[112:113], -v[74:75]
	v_add_f64 v[78:79], v[98:99], -v[78:79]
	v_fma_f64 v[56:57], v[114:115], 2.0, -v[52:53]
	v_fma_f64 v[86:87], v[110:111], 2.0, -v[66:67]
	v_add_nc_u32_e32 v17, v17, v147
	v_add_nc_u32_e32 v13, v18, v148
	v_fma_f64 v[82:83], v[82:83], 2.0, -v[62:63]
	v_fma_f64 v[88:89], v[88:89], 2.0, -v[68:69]
	v_add_lshl_u32 v15, v216, v15, 4
	v_add_lshl_u32 v14, v216, v17, 4
	;; [unrolled: 1-line block ×3, first 2 shown]
	s_waitcnt lgkmcnt(0)
	s_waitcnt_vscnt null, 0x0
	s_barrier
	buffer_gl0_inv
	v_fma_f64 v[102:103], v[104:105], 2.0, -v[84:85]
	v_add_f64 v[124:125], v[0:1], -v[84:85]
	v_fma_f64 v[84:85], v[106:107], 2.0, -v[64:65]
	v_fma_f64 v[94:95], v[112:113], 2.0, -v[74:75]
	v_add_f64 v[128:129], v[4:5], -v[100:101]
	v_fma_f64 v[58:59], v[116:117], 2.0, -v[54:55]
	v_fma_f64 v[98:99], v[98:99], 2.0, -v[78:79]
	ds_write_b128 v15, v[52:55] offset:816
	ds_write_b128 v15, v[56:59] offset:272
	ds_write_b128 v15, v[64:67] offset:544
	v_add_f64 v[130:131], v[6:7], -v[102:103]
	buffer_store_dword v15, off, s[60:63], 0 offset:120 ; 4-byte Folded Spill
	ds_write_b128 v15, v[84:87]
	ds_write_b128 v14, v[80:83] offset:272
	ds_write_b128 v14, v[72:75] offset:544
	;; [unrolled: 1-line block ×3, first 2 shown]
	buffer_store_dword v14, off, s[60:63], 0 offset:112 ; 4-byte Folded Spill
	ds_write_b128 v14, v[92:95]
	ds_write_b128 v13, v[96:99]
	ds_write_b128 v13, v[88:91] offset:272
	ds_write_b128 v13, v[76:79] offset:544
	buffer_store_dword v13, off, s[60:63], 0 offset:64 ; 4-byte Folded Spill
	ds_write_b128 v13, v[68:71] offset:816
	s_mov_b32 s1, exec_lo
	s_clause 0x3
	buffer_load_dword v30, off, s[60:63], 0 offset:24
	buffer_load_dword v31, off, s[60:63], 0 offset:28
	buffer_load_dword v32, off, s[60:63], 0 offset:32
	buffer_load_dword v33, off, s[60:63], 0 offset:36
	s_and_b32 s8, s1, s0
	s_mov_b32 exec_lo, s8
	s_cbranch_execz .LBB0_11
; %bb.10:
	buffer_load_dword v13, off, s[60:63], 0 offset:56 ; 4-byte Folded Reload
	v_fma_f64 v[6:7], v[6:7], 2.0, -v[130:131]
	v_fma_f64 v[4:5], v[4:5], 2.0, -v[128:129]
	;; [unrolled: 1-line block ×4, first 2 shown]
	s_waitcnt vmcnt(0)
	v_and_b32_e32 v13, 0xffff, v13
	v_add_lshl_u32 v13, v216, v13, 4
	ds_write_b128 v13, v[128:131] offset:544
	ds_write_b128 v13, v[4:7]
	ds_write_b128 v13, v[0:3] offset:272
	ds_write_b128 v13, v[124:127] offset:816
.LBB0_11:
	s_or_b32 exec_lo, exec_lo, s1
	s_waitcnt vmcnt(0) lgkmcnt(0)
	s_waitcnt_vscnt null, 0x0
	s_barrier
	buffer_gl0_inv
	buffer_load_dword v213, off, s[60:63], 0 ; 4-byte Folded Reload
	v_mul_lo_u16 v1, 0x79, v12
	v_lshrrev_b32_e32 v6, 22, v11
	s_mov_b32 s22, 0xe976ee23
	s_mov_b32 s20, 0x5476071b
	;; [unrolled: 1-line block ×3, first 2 shown]
	v_lshrrev_b16 v1, 13, v1
	v_mul_lo_u16 v6, 0x44, v6
	s_mov_b32 s21, 0x3fe77f67
	s_mov_b32 s16, 0x37e14327
	;; [unrolled: 1-line block ×3, first 2 shown]
	v_mul_lo_u16 v1, 0x44, v1
	v_sub_nc_u16 v6, v9, v6
	s_mov_b32 s10, 0xaaaaaaaa
	s_mov_b32 s17, 0x3fe948f6
	;; [unrolled: 1-line block ×3, first 2 shown]
	v_sub_nc_u16 v1, v8, v1
	v_and_b32_e32 v17, 0xffff, v6
	s_mov_b32 s11, 0xbff2aaaa
	s_mov_b32 s26, 0xb247c609
	;; [unrolled: 1-line block ×3, first 2 shown]
	v_and_b32_e32 v16, 0xff, v1
	s_mov_b32 s19, 0xbfe77f67
	s_mov_b32 s27, 0x3fd5d0dc
	;; [unrolled: 1-line block ×6, first 2 shown]
	s_waitcnt vmcnt(0)
	v_add_nc_u32_e32 v0, 0x110, v213
	v_add_nc_u32_e32 v2, 0x154, v213
	;; [unrolled: 1-line block ×3, first 2 shown]
	v_lshlrev_b32_e32 v212, 4, v213
	v_mul_u32_u24_sdwa v4, v0, v10 dst_sel:DWORD dst_unused:UNUSED_PAD src0_sel:WORD_0 src1_sel:DWORD
	v_mul_u32_u24_sdwa v5, v2, v10 dst_sel:DWORD dst_unused:UNUSED_PAD src0_sel:WORD_0 src1_sel:DWORD
	;; [unrolled: 1-line block ×3, first 2 shown]
	global_load_dwordx4 v[64:67], v212, s[2:3] offset:816
	v_lshrrev_b32_e32 v4, 22, v4
	v_lshrrev_b32_e32 v5, 22, v5
	;; [unrolled: 1-line block ×3, first 2 shown]
	v_mul_lo_u16 v4, 0x44, v4
	v_mul_lo_u16 v5, 0x44, v5
	;; [unrolled: 1-line block ×3, first 2 shown]
	v_sub_nc_u16 v0, v0, v4
	v_sub_nc_u16 v1, v2, v5
	v_sub_nc_u16 v2, v3, v7
	v_and_b32_e32 v18, 0xffff, v0
	v_lshlrev_b32_e32 v0, 4, v16
	v_and_b32_e32 v19, 0xffff, v1
	v_lshlrev_b32_e32 v1, 4, v17
	;; [unrolled: 2-line block ×3, first 2 shown]
	global_load_dwordx4 v[104:107], v0, s[2:3] offset:816
	v_add_lshl_u32 v18, v216, v18, 4
	global_load_dwordx4 v[108:111], v1, s[2:3] offset:816
	v_lshlrev_b32_e32 v0, 4, v19
	v_lshlrev_b32_e32 v1, 4, v152
	s_clause 0x2
	global_load_dwordx4 v[112:115], v2, s[2:3] offset:816
	global_load_dwordx4 v[100:103], v0, s[2:3] offset:816
	;; [unrolled: 1-line block ×3, first 2 shown]
	ds_read_b128 v[0:3], v255 offset:7616
	ds_read_b128 v[4:7], v255 offset:8704
	;; [unrolled: 1-line block ×8, first 2 shown]
	ds_read_b128 v[72:75], v255
	ds_read_b128 v[76:79], v255 offset:1088
	ds_read_b128 v[80:83], v255 offset:2176
	;; [unrolled: 1-line block ×5, first 2 shown]
	s_waitcnt vmcnt(0) lgkmcnt(0)
	s_barrier
	buffer_gl0_inv
	v_mul_f64 v[116:117], v[2:3], v[66:67]
	v_mul_f64 v[118:119], v[0:1], v[66:67]
	v_mul_f64 v[120:121], v[6:7], v[66:67]
	v_mul_f64 v[122:123], v[4:5], v[66:67]
	v_fma_f64 v[0:1], v[0:1], v[64:65], -v[116:117]
	v_mul_f64 v[132:133], v[10:11], v[106:107]
	v_mul_f64 v[134:135], v[8:9], v[106:107]
	;; [unrolled: 1-line block ×4, first 2 shown]
	v_fma_f64 v[2:3], v[2:3], v[64:65], v[118:119]
	v_mul_f64 v[140:141], v[54:55], v[114:115]
	v_mul_f64 v[142:143], v[52:53], v[114:115]
	;; [unrolled: 1-line block ×6, first 2 shown]
	v_fma_f64 v[4:5], v[4:5], v[64:65], -v[120:121]
	v_fma_f64 v[6:7], v[6:7], v[64:65], v[122:123]
	v_mad_u64_u32 v[116:117], null, 0x60, v213, s[2:3]
	v_add_lshl_u32 v119, v216, v16, 4
	v_add_lshl_u32 v118, v216, v17, 4
	;; [unrolled: 1-line block ×4, first 2 shown]
	s_mov_b32 s2, 0x36b3c0b5
	s_mov_b32 s3, 0x3fac98ee
	v_add_f64 v[0:1], v[72:73], -v[0:1]
	v_fma_f64 v[8:9], v[8:9], v[104:105], -v[132:133]
	v_fma_f64 v[10:11], v[10:11], v[104:105], v[134:135]
	v_fma_f64 v[12:13], v[12:13], v[108:109], -v[136:137]
	v_fma_f64 v[14:15], v[14:15], v[108:109], v[138:139]
	v_add_f64 v[2:3], v[74:75], -v[2:3]
	v_fma_f64 v[52:53], v[52:53], v[112:113], -v[140:141]
	v_fma_f64 v[54:55], v[54:55], v[112:113], v[142:143]
	v_fma_f64 v[56:57], v[56:57], v[100:101], -v[144:145]
	v_fma_f64 v[58:59], v[58:59], v[100:101], v[146:147]
	;; [unrolled: 2-line block ×3, first 2 shown]
	v_add_f64 v[4:5], v[76:77], -v[4:5]
	v_add_f64 v[6:7], v[78:79], -v[6:7]
	v_fma_f64 v[72:73], v[72:73], 2.0, -v[0:1]
	v_add_f64 v[8:9], v[80:81], -v[8:9]
	v_add_f64 v[10:11], v[82:83], -v[10:11]
	;; [unrolled: 1-line block ×4, first 2 shown]
	v_fma_f64 v[74:75], v[74:75], 2.0, -v[2:3]
	v_add_f64 v[52:53], v[88:89], -v[52:53]
	v_add_f64 v[54:55], v[90:91], -v[54:55]
	;; [unrolled: 1-line block ×6, first 2 shown]
	v_fma_f64 v[76:77], v[76:77], 2.0, -v[4:5]
	v_fma_f64 v[78:79], v[78:79], 2.0, -v[6:7]
	ds_write_b128 v255, v[0:3] offset:1088
	ds_write_b128 v255, v[4:7] offset:3264
	ds_write_b128 v255, v[72:75]
	ds_write_b128 v255, v[76:79] offset:2176
	ds_write_b128 v119, v[8:11] offset:5440
	v_fma_f64 v[80:81], v[80:81], 2.0, -v[8:9]
	v_fma_f64 v[82:83], v[82:83], 2.0, -v[10:11]
	;; [unrolled: 1-line block ×10, first 2 shown]
	v_add_co_u32 v0, s1, 0x1980, v116
	v_add_co_ci_u32_e64 v1, s1, 0, v117, s1
	buffer_store_dword v119, off, s[60:63], 0 offset:104 ; 4-byte Folded Spill
	ds_write_b128 v119, v[80:83] offset:4352
	ds_write_b128 v118, v[84:87] offset:6528
	buffer_store_dword v118, off, s[60:63], 0 offset:88 ; 4-byte Folded Spill
	ds_write_b128 v118, v[12:15] offset:7616
	ds_write_b128 v18, v[52:55] offset:9792
	;; [unrolled: 3-line block ×4, first 2 shown]
	buffer_store_dword v16, off, s[60:63], 0 offset:72 ; 4-byte Folded Spill
	ds_write_b128 v16, v[60:63] offset:14144
	s_waitcnt lgkmcnt(0)
	s_waitcnt_vscnt null, 0x0
	s_barrier
	buffer_gl0_inv
	s_clause 0xb
	global_load_dwordx4 v[60:63], v[116:117], off offset:1904
	global_load_dwordx4 v[56:59], v[116:117], off offset:1920
	;; [unrolled: 1-line block ×12, first 2 shown]
	ds_read_b128 v[0:3], v255 offset:2176
	ds_read_b128 v[4:7], v255 offset:4352
	;; [unrolled: 1-line block ×12, first 2 shown]
	s_waitcnt vmcnt(7) lgkmcnt(7)
	v_mul_f64 v[180:181], v[134:135], v[82:83]
	s_waitcnt vmcnt(6) lgkmcnt(6)
	v_mul_f64 v[184:185], v[138:139], v[74:75]
	;; [unrolled: 2-line block ×3, first 2 shown]
	v_mul_f64 v[164:165], v[2:3], v[62:63]
	v_mul_f64 v[168:169], v[6:7], v[58:59]
	;; [unrolled: 1-line block ×4, first 2 shown]
	s_waitcnt vmcnt(4) lgkmcnt(4)
	v_mul_f64 v[192:193], v[146:147], v[86:87]
	s_waitcnt vmcnt(2) lgkmcnt(1)
	v_mul_f64 v[200:201], v[158:159], v[118:119]
	;; [unrolled: 2-line block ×3, first 2 shown]
	v_mul_f64 v[166:167], v[0:1], v[62:63]
	v_mul_f64 v[174:175], v[8:9], v[54:55]
	v_mul_f64 v[178:179], v[12:13], v[70:71]
	v_mul_f64 v[182:183], v[132:133], v[82:83]
	v_mul_f64 v[186:187], v[136:137], v[74:75]
	v_mul_f64 v[190:191], v[140:141], v[90:91]
	v_mul_f64 v[194:195], v[144:145], v[86:87]
	v_mul_f64 v[196:197], v[150:151], v[78:79]
	v_mul_f64 v[198:199], v[148:149], v[78:79]
	v_mul_f64 v[202:203], v[156:157], v[118:119]
	v_mul_f64 v[204:205], v[154:155], v[94:95]
	v_mul_f64 v[206:207], v[152:153], v[94:95]
	v_mul_f64 v[210:211], v[160:161], v[122:123]
	v_fma_f64 v[132:133], v[132:133], v[80:81], -v[180:181]
	v_fma_f64 v[136:137], v[136:137], v[72:73], -v[184:185]
	;; [unrolled: 1-line block ×10, first 2 shown]
	v_fma_f64 v[166:167], v[2:3], v[60:61], v[166:167]
	v_fma_f64 v[14:15], v[14:15], v[68:69], v[178:179]
	;; [unrolled: 1-line block ×6, first 2 shown]
	v_fma_f64 v[148:149], v[148:149], v[76:77], -v[196:197]
	v_fma_f64 v[150:151], v[150:151], v[76:77], v[198:199]
	v_fma_f64 v[158:159], v[158:159], v[116:117], v[202:203]
	v_fma_f64 v[152:153], v[152:153], v[92:93], -v[204:205]
	v_fma_f64 v[154:155], v[154:155], v[92:93], v[206:207]
	v_fma_f64 v[162:163], v[162:163], v[120:121], v[210:211]
	v_mul_f64 v[170:171], v[4:5], v[58:59]
	v_fma_f64 v[134:135], v[134:135], v[80:81], v[182:183]
	v_add_f64 v[176:177], v[168:169], v[132:133]
	v_add_f64 v[132:133], v[168:169], -v[132:133]
	v_add_f64 v[172:173], v[164:165], v[12:13]
	v_add_f64 v[12:13], v[164:165], -v[12:13]
	;; [unrolled: 2-line block ×4, first 2 shown]
	v_add_f64 v[156:157], v[144:145], v[160:161]
	v_add_f64 v[174:175], v[166:167], v[14:15]
	v_add_f64 v[14:15], v[166:167], -v[14:15]
	v_add_f64 v[166:167], v[10:11], v[138:139]
	v_add_f64 v[10:11], v[138:139], -v[10:11]
	v_add_f64 v[144:145], v[144:145], -v[160:161]
	v_add_f64 v[138:139], v[142:143], v[158:159]
	v_add_f64 v[142:143], v[142:143], -v[158:159]
	v_add_f64 v[160:161], v[148:149], v[152:153]
	v_add_f64 v[158:159], v[146:147], v[162:163]
	v_add_f64 v[146:147], v[146:147], -v[162:163]
	v_add_f64 v[162:163], v[150:151], v[154:155]
	v_add_f64 v[148:149], v[152:153], -v[148:149]
	v_add_f64 v[150:151], v[154:155], -v[150:151]
	v_fma_f64 v[170:171], v[6:7], v[56:57], v[170:171]
	v_add_f64 v[152:153], v[176:177], v[172:173]
	v_add_f64 v[168:169], v[176:177], -v[172:173]
	v_add_f64 v[176:177], v[164:165], -v[176:177]
	;; [unrolled: 1-line block ×3, first 2 shown]
	ds_read_b128 v[0:3], v255
	ds_read_b128 v[4:7], v255 offset:1088
	v_add_f64 v[180:181], v[8:9], v[132:133]
	v_add_f64 v[188:189], v[156:157], v[136:137]
	v_add_f64 v[192:193], v[156:157], -v[136:137]
	v_add_f64 v[184:185], v[8:9], -v[132:133]
	;; [unrolled: 1-line block ×5, first 2 shown]
	v_add_f64 v[190:191], v[158:159], v[138:139]
	v_add_f64 v[156:157], v[160:161], -v[156:157]
	v_add_f64 v[194:195], v[158:159], -v[138:139]
	v_add_f64 v[196:197], v[148:149], v[144:145]
	v_add_f64 v[198:199], v[150:151], v[146:147]
	v_add_f64 v[200:201], v[148:149], -v[144:145]
	v_add_f64 v[202:203], v[150:151], -v[146:147]
	v_add_f64 v[164:165], v[164:165], v[152:153]
	v_mul_f64 v[152:153], v[176:177], s[2:3]
	v_add_f64 v[138:139], v[138:139], -v[162:163]
	v_add_f64 v[158:159], v[162:163], -v[158:159]
	;; [unrolled: 1-line block ×3, first 2 shown]
	v_add_f64 v[160:161], v[160:161], v[188:189]
	v_add_f64 v[144:145], v[144:145], -v[140:141]
	v_add_f64 v[146:147], v[146:147], -v[142:143]
	v_mul_f64 v[172:173], v[172:173], s[16:17]
	v_add_f64 v[178:179], v[170:171], v[134:135]
	v_add_f64 v[134:135], v[170:171], -v[134:135]
	v_add_f64 v[150:151], v[142:143], -v[150:151]
	v_add_f64 v[12:13], v[180:181], v[12:13]
	v_mul_f64 v[180:181], v[184:185], s[22:23]
	v_mul_f64 v[136:137], v[136:137], s[16:17]
	v_add_f64 v[162:163], v[162:163], v[190:191]
	v_mul_f64 v[184:185], v[132:133], s[8:9]
	v_add_f64 v[188:189], v[196:197], v[140:141]
	v_add_f64 v[190:191], v[198:199], v[142:143]
	v_mul_f64 v[196:197], v[200:201], s[22:23]
	v_mul_f64 v[198:199], v[202:203], s[22:23]
	s_waitcnt lgkmcnt(1)
	v_add_f64 v[140:141], v[0:1], v[164:165]
	v_mul_f64 v[0:1], v[156:157], s[2:3]
	v_fma_f64 v[204:205], v[168:169], s[20:21], -v[152:153]
	v_mul_f64 v[138:139], v[138:139], s[16:17]
	s_waitcnt lgkmcnt(0)
	v_add_f64 v[152:153], v[4:5], v[160:161]
	v_mul_f64 v[200:201], v[144:145], s[8:9]
	v_mul_f64 v[202:203], v[146:147], s[8:9]
	v_fma_f64 v[176:177], v[176:177], s[2:3], v[172:173]
	v_fma_f64 v[4:5], v[168:169], s[18:19], -v[172:173]
	v_add_f64 v[154:155], v[178:179], v[174:175]
	v_add_f64 v[170:171], v[178:179], -v[174:175]
	v_add_f64 v[178:179], v[166:167], -v[178:179]
	;; [unrolled: 1-line block ×3, first 2 shown]
	v_fma_f64 v[156:157], v[156:157], s[2:3], v[136:137]
	v_fma_f64 v[136:137], v[192:193], s[18:19], -v[136:137]
	v_add_f64 v[182:183], v[10:11], v[134:135]
	v_add_f64 v[186:187], v[10:11], -v[134:135]
	v_add_f64 v[134:135], v[134:135], -v[14:15]
	;; [unrolled: 1-line block ×3, first 2 shown]
	v_fma_f64 v[144:145], v[144:145], s[8:9], -v[196:197]
	v_fma_f64 v[146:147], v[146:147], s[8:9], -v[198:199]
	v_fma_f64 v[172:173], v[148:149], s[26:27], v[196:197]
	v_fma_f64 v[0:1], v[192:193], s[20:21], -v[0:1]
	v_fma_f64 v[168:169], v[8:9], s[26:27], v[180:181]
	v_fma_f64 v[132:133], v[132:133], s[8:9], -v[180:181]
	v_fma_f64 v[8:9], v[8:9], s[28:29], -v[184:185]
	v_fma_f64 v[160:161], v[160:161], s[10:11], v[152:153]
	v_fma_f64 v[148:149], v[148:149], s[28:29], -v[200:201]
	v_fma_f64 v[164:165], v[164:165], s[10:11], v[140:141]
	v_add_f64 v[166:167], v[166:167], v[154:155]
	v_mul_f64 v[154:155], v[178:179], s[2:3]
	v_mul_f64 v[174:175], v[174:175], s[16:17]
	v_add_f64 v[14:15], v[182:183], v[14:15]
	v_mul_f64 v[182:183], v[186:187], s[22:23]
	v_mul_f64 v[186:187], v[134:135], s[8:9]
	v_fma_f64 v[196:197], v[188:189], s[24:25], v[144:145]
	v_fma_f64 v[144:145], v[190:191], s[24:25], v[146:147]
	;; [unrolled: 1-line block ×6, first 2 shown]
	v_add_f64 v[0:1], v[0:1], v[160:161]
	v_fma_f64 v[188:189], v[188:189], s[24:25], v[148:149]
	v_add_f64 v[12:13], v[176:177], v[164:165]
	v_add_f64 v[4:5], v[4:5], v[164:165]
	v_add_f64 v[176:177], v[204:205], v[164:165]
	v_add_f64 v[142:143], v[2:3], v[166:167]
	v_mul_f64 v[2:3], v[158:159], s[2:3]
	v_fma_f64 v[206:207], v[170:171], s[20:21], -v[154:155]
	v_add_f64 v[154:155], v[6:7], v[162:163]
	v_fma_f64 v[178:179], v[178:179], s[2:3], v[174:175]
	v_fma_f64 v[6:7], v[170:171], s[18:19], -v[174:175]
	v_fma_f64 v[158:159], v[158:159], s[2:3], v[138:139]
	v_fma_f64 v[170:171], v[10:11], s[26:27], v[182:183]
	v_fma_f64 v[134:135], v[134:135], s[8:9], -v[182:183]
	v_fma_f64 v[10:11], v[10:11], s[28:29], -v[186:187]
	v_fma_f64 v[174:175], v[150:151], s[26:27], v[198:199]
	v_fma_f64 v[150:151], v[150:151], s[28:29], -v[202:203]
	v_fma_f64 v[138:139], v[194:195], s[18:19], -v[138:139]
	v_add_f64 v[198:199], v[156:157], v[160:161]
	v_add_f64 v[136:137], v[136:137], v[160:161]
	v_add_f64 v[148:149], v[0:1], -v[144:145]
	v_add_f64 v[144:145], v[144:145], v[0:1]
	buffer_load_dword v0, off, s[60:63], 0 offset:4 ; 4-byte Folded Reload
	v_fma_f64 v[166:167], v[166:167], s[10:11], v[142:143]
	v_fma_f64 v[2:3], v[194:195], s[20:21], -v[2:3]
	v_fma_f64 v[162:163], v[162:163], s[10:11], v[154:155]
	v_fma_f64 v[170:171], v[14:15], s[24:25], v[170:171]
	;; [unrolled: 1-line block ×6, first 2 shown]
	v_add_f64 v[14:15], v[178:179], v[166:167]
	v_add_f64 v[6:7], v[6:7], v[166:167]
	;; [unrolled: 1-line block ×7, first 2 shown]
	v_add_f64 v[164:165], v[176:177], -v[134:135]
	v_add_f64 v[160:161], v[10:11], v[4:5]
	v_add_f64 v[172:173], v[134:135], v[176:177]
	v_add_f64 v[176:177], v[4:5], -v[10:11]
	v_add_f64 v[180:181], v[12:13], -v[170:171]
	v_add_f64 v[184:185], v[194:195], v[198:199]
	v_add_f64 v[158:159], v[14:15], -v[168:169]
	v_add_f64 v[162:163], v[6:7], -v[8:9]
	v_add_f64 v[166:167], v[132:133], v[178:179]
	v_add_f64 v[174:175], v[178:179], -v[132:133]
	v_add_f64 v[178:179], v[8:9], v[6:7]
	v_add_f64 v[182:183], v[168:169], v[14:15]
	v_add_f64 v[186:187], v[200:201], -v[192:193]
	v_add_f64 v[168:169], v[190:191], v[136:137]
	v_add_f64 v[170:171], v[138:139], -v[188:189]
	;; [unrolled: 2-line block ×3, first 2 shown]
	v_add_f64 v[136:137], v[136:137], -v[190:191]
	v_add_f64 v[138:139], v[188:189], v[138:139]
	v_add_f64 v[132:133], v[198:199], -v[194:195]
	v_add_f64 v[134:135], v[192:193], v[200:201]
	s_waitcnt vmcnt(0)
	v_lshl_add_u32 v1, v213, 4, v0
	v_add_nc_u32_e32 v216, v0, v212
	buffer_store_dword v1, off, s[60:63], 0 offset:8 ; 4-byte Folded Spill
	ds_write_b128 v1, v[140:143]
	ds_write_b128 v216, v[152:155] offset:1088
	ds_write_b128 v216, v[156:159] offset:2176
	;; [unrolled: 1-line block ×13, first 2 shown]
	s_waitcnt lgkmcnt(0)
	s_waitcnt_vscnt null, 0x0
	s_barrier
	buffer_gl0_inv
	s_and_saveexec_b32 s8, vcc_lo
	s_cbranch_execz .LBB0_13
; %bb.12:
	buffer_load_dword v0, off, s[60:63], 0  ; 4-byte Folded Reload
	s_add_u32 s2, s12, 0x3b80
	s_addc_u32 s3, s13, 0
	s_waitcnt vmcnt(0)
	v_lshlrev_b32_e32 v17, 4, v0
	s_clause 0x2
	global_load_dwordx4 v[2:5], v17, s[2:3]
	global_load_dwordx4 v[6:9], v17, s[2:3] offset:896
	global_load_dwordx4 v[10:13], v17, s[2:3] offset:1792
	v_add_co_u32 v0, s1, s2, v17
	v_add_co_ci_u32_e64 v1, null, s3, 0, s1
	v_or_b32_e32 v16, 0x1c00, v17
	v_add_co_u32 v14, s1, 0x800, v0
	v_add_co_ci_u32_e64 v15, s1, 0, v1, s1
	s_clause 0x1
	global_load_dwordx4 v[200:203], v[14:15], off offset:640
	global_load_dwordx4 v[196:199], v[14:15], off offset:1536
	v_add_co_u32 v14, s1, 0x1000, v0
	v_add_co_ci_u32_e64 v15, s1, 0, v1, s1
	s_clause 0x1
	global_load_dwordx4 v[204:207], v[14:15], off offset:384
	global_load_dwordx4 v[208:211], v[14:15], off offset:1280
	v_add_co_u32 v14, s1, 0x1800, v0
	v_add_co_ci_u32_e64 v15, s1, 0, v1, s1
	global_load_dwordx4 v[217:220], v16, s[2:3]
	buffer_load_dword v16, off, s[60:63], 0 offset:8 ; 4-byte Folded Reload
	s_clause 0x1
	global_load_dwordx4 v[212:215], v[14:15], off offset:128
	global_load_dwordx4 v[221:224], v[14:15], off offset:1920
	v_add_co_u32 v14, s1, 0x2000, v0
	v_add_co_ci_u32_e64 v15, s1, 0, v1, s1
	v_add_co_u32 v237, s1, 0x2800, v0
	v_add_co_ci_u32_e64 v238, s1, 0, v1, s1
	;; [unrolled: 2-line block ×3, first 2 shown]
	s_waitcnt vmcnt(2)
	ds_read_b128 v[188:191], v16
	s_waitcnt lgkmcnt(0)
	v_mul_f64 v[192:193], v[190:191], v[4:5]
	v_mul_f64 v[4:5], v[188:189], v[4:5]
	v_fma_f64 v[188:189], v[188:189], v[2:3], -v[192:193]
	v_fma_f64 v[190:191], v[190:191], v[2:3], v[4:5]
	global_load_dwordx4 v[2:5], v[14:15], off offset:768
	ds_write_b128 v16, v[188:191]
	ds_read_b128 v[188:191], v216 offset:896
	ds_read_b128 v[192:195], v216 offset:1792
	;; [unrolled: 1-line block ×5, first 2 shown]
	s_waitcnt lgkmcnt(4)
	v_mul_f64 v[229:230], v[190:191], v[8:9]
	v_mul_f64 v[8:9], v[188:189], v[8:9]
	s_waitcnt lgkmcnt(3)
	v_mul_f64 v[231:232], v[194:195], v[12:13]
	v_mul_f64 v[233:234], v[192:193], v[12:13]
	v_fma_f64 v[188:189], v[188:189], v[6:7], -v[229:230]
	v_fma_f64 v[190:191], v[190:191], v[6:7], v[8:9]
	global_load_dwordx4 v[6:9], v[14:15], off offset:1664
	ds_read_b128 v[12:15], v216 offset:3584
	s_waitcnt lgkmcnt(3)
	v_mul_f64 v[229:230], v[227:228], v[202:203]
	v_fma_f64 v[192:193], v[192:193], v[10:11], -v[231:232]
	v_fma_f64 v[194:195], v[194:195], v[10:11], v[233:234]
	v_mul_f64 v[10:11], v[225:226], v[202:203]
	s_waitcnt lgkmcnt(0)
	v_mul_f64 v[202:203], v[14:15], v[198:199]
	v_mul_f64 v[233:234], v[12:13], v[198:199]
	v_fma_f64 v[198:199], v[225:226], v[200:201], -v[229:230]
	ds_read_b128 v[229:232], v216 offset:4480
	v_fma_f64 v[200:201], v[227:228], v[200:201], v[10:11]
	global_load_dwordx4 v[225:228], v[237:238], off offset:512
	v_fma_f64 v[10:11], v[12:13], v[196:197], -v[202:203]
	v_fma_f64 v[12:13], v[14:15], v[196:197], v[233:234]
	ds_read_b128 v[233:236], v216 offset:5376
	s_waitcnt lgkmcnt(1)
	v_mul_f64 v[14:15], v[231:232], v[206:207]
	v_mul_f64 v[196:197], v[229:230], v[206:207]
	v_fma_f64 v[202:203], v[229:230], v[204:205], -v[14:15]
	v_fma_f64 v[204:205], v[231:232], v[204:205], v[196:197]
	global_load_dwordx4 v[229:232], v[237:238], off offset:1408
	s_waitcnt lgkmcnt(0)
	v_mul_f64 v[14:15], v[235:236], v[210:211]
	v_mul_f64 v[196:197], v[233:234], v[210:211]
	ds_read_b128 v[237:240], v216 offset:12544
	v_fma_f64 v[206:207], v[233:234], v[208:209], -v[14:15]
	v_fma_f64 v[208:209], v[235:236], v[208:209], v[196:197]
	ds_read_b128 v[233:236], v216 offset:6272
	s_waitcnt vmcnt(5) lgkmcnt(0)
	v_mul_f64 v[14:15], v[235:236], v[214:215]
	v_mul_f64 v[196:197], v[233:234], v[214:215]
	v_fma_f64 v[210:211], v[233:234], v[212:213], -v[14:15]
	v_fma_f64 v[212:213], v[235:236], v[212:213], v[196:197]
	ds_read_b128 v[233:236], v216 offset:7168
	s_waitcnt lgkmcnt(0)
	v_mul_f64 v[14:15], v[235:236], v[219:220]
	v_mul_f64 v[196:197], v[233:234], v[219:220]
	v_fma_f64 v[233:234], v[233:234], v[217:218], -v[14:15]
	v_fma_f64 v[235:236], v[235:236], v[217:218], v[196:197]
	ds_read_b128 v[217:220], v216 offset:8064
	s_waitcnt vmcnt(4) lgkmcnt(0)
	v_mul_f64 v[14:15], v[219:220], v[223:224]
	v_mul_f64 v[196:197], v[217:218], v[223:224]
	v_fma_f64 v[217:218], v[217:218], v[221:222], -v[14:15]
	v_fma_f64 v[219:220], v[219:220], v[221:222], v[196:197]
	ds_read_b128 v[221:224], v216 offset:8960
	s_waitcnt vmcnt(3) lgkmcnt(0)
	;; [unrolled: 6-line block ×5, first 2 shown]
	v_mul_f64 v[14:15], v[227:228], v[231:232]
	v_mul_f64 v[196:197], v[225:226], v[231:232]
	v_fma_f64 v[225:226], v[225:226], v[229:230], -v[14:15]
	v_fma_f64 v[227:228], v[227:228], v[229:230], v[196:197]
	global_load_dwordx4 v[229:232], v[0:1], off offset:256
	s_waitcnt vmcnt(0)
	v_mul_f64 v[14:15], v[239:240], v[231:232]
	v_mul_f64 v[196:197], v[237:238], v[231:232]
	v_fma_f64 v[237:238], v[237:238], v[229:230], -v[14:15]
	v_fma_f64 v[239:240], v[239:240], v[229:230], v[196:197]
	global_load_dwordx4 v[229:232], v[0:1], off offset:1152
	s_waitcnt vmcnt(0)
	v_mul_f64 v[0:1], v[243:244], v[231:232]
	v_mul_f64 v[14:15], v[241:242], v[231:232]
	v_fma_f64 v[241:242], v[241:242], v[229:230], -v[0:1]
	v_or_b32_e32 v0, 0x3800, v17
	v_fma_f64 v[243:244], v[243:244], v[229:230], v[14:15]
	global_load_dwordx4 v[229:232], v0, s[2:3]
	s_waitcnt vmcnt(0)
	v_mul_f64 v[0:1], v[247:248], v[231:232]
	v_mul_f64 v[14:15], v[245:246], v[231:232]
	v_fma_f64 v[245:246], v[245:246], v[229:230], -v[0:1]
	v_fma_f64 v[247:248], v[247:248], v[229:230], v[14:15]
	ds_write_b128 v216, v[188:191] offset:896
	ds_write_b128 v216, v[192:195] offset:1792
	;; [unrolled: 1-line block ×16, first 2 shown]
.LBB0_13:
	s_or_b32 exec_lo, exec_lo, s8
	s_waitcnt lgkmcnt(0)
	s_barrier
	buffer_gl0_inv
	s_and_saveexec_b32 s1, vcc_lo
	s_cbranch_execz .LBB0_15
; %bb.14:
	buffer_load_dword v0, off, s[60:63], 0 offset:8 ; 4-byte Folded Reload
	s_waitcnt vmcnt(0)
	ds_read_b128 v[140:143], v0
	ds_read_b128 v[156:159], v0 offset:896
	ds_read_b128 v[160:163], v0 offset:1792
	;; [unrolled: 1-line block ×16, first 2 shown]
.LBB0_15:
	s_or_b32 exec_lo, exec_lo, s1
	s_waitcnt lgkmcnt(0)
	v_add_f64 v[233:234], v[158:159], -v[32:33]
	v_add_f64 v[4:5], v[32:33], v[158:159]
	s_mov_b32 s8, 0x2a9d6da3
	s_mov_b32 s2, 0x75d4884
	;; [unrolled: 1-line block ×4, first 2 shown]
	v_add_f64 v[16:17], v[162:163], -v[126:127]
	v_add_f64 v[210:211], v[126:127], v[162:163]
	s_mov_b32 s10, 0xeb564b22
	s_mov_b32 s18, 0x3259b75e
	;; [unrolled: 1-line block ×4, first 2 shown]
	v_add_f64 v[20:21], v[166:167], -v[130:131]
	s_mov_b32 s16, 0x6c9a05f6
	s_mov_b32 s17, 0xbfe9895b
	v_add_f64 v[225:226], v[174:175], -v[134:135]
	s_mov_b32 s20, 0xacd6c6b4
	s_mov_b32 s21, 0xbfc7851a
	v_add_f64 v[239:240], v[30:31], v[156:157]
	v_add_f64 v[0:1], v[156:157], -v[30:31]
	v_add_f64 v[208:209], v[124:125], v[160:161]
	v_add_f64 v[219:220], v[160:161], -v[124:125]
	v_mul_f64 v[2:3], v[233:234], s[8:9]
	v_mul_f64 v[6:7], v[4:5], s[2:3]
	v_add_f64 v[217:218], v[166:167], v[130:131]
	s_mov_b32 s22, 0x6ed5f1bb
	s_mov_b32 s23, 0xbfe348c8
	v_add_f64 v[214:215], v[164:165], v[128:129]
	v_mul_f64 v[8:9], v[16:17], s[10:11]
	v_mul_f64 v[10:11], v[210:211], s[18:19]
	v_add_f64 v[231:232], v[164:165], -v[128:129]
	v_add_f64 v[229:230], v[174:175], v[134:135]
	s_mov_b32 s24, 0x7faef3
	s_mov_b32 s25, 0xbfef7484
	v_mul_f64 v[12:13], v[20:21], s[16:17]
	v_add_f64 v[227:228], v[172:173], v[132:133]
	v_add_f64 v[235:236], v[172:173], -v[132:133]
	v_mul_f64 v[14:15], v[225:226], s[20:21]
	v_add_f64 v[241:242], v[178:179], -v[138:139]
	s_mov_b32 s30, 0x4363dd80
	s_mov_b32 s31, 0x3fe0d888
	v_add_f64 v[243:244], v[136:137], v[176:177]
	s_mov_b32 s26, 0x910ea3b9
	s_mov_b32 s27, 0xbfeb34fa
	buffer_store_dword v2, off, s[60:63], 0 offset:304 ; 4-byte Folded Spill
	buffer_store_dword v3, off, s[60:63], 0 offset:308 ; 4-byte Folded Spill
	;; [unrolled: 1-line block ×12, first 2 shown]
	v_mul_f64 v[28:29], v[217:218], s[22:23]
	v_mul_f64 v[36:37], v[229:230], s[24:25]
	;; [unrolled: 1-line block ×3, first 2 shown]
	v_add_f64 v[251:252], v[138:139], v[178:179]
	v_add_f64 v[253:254], v[176:177], -v[136:137]
	v_add_f64 v[249:250], v[182:183], -v[146:147]
	s_mov_b32 s38, 0x923c349f
	s_mov_b32 s39, 0xbfeec746
	s_mov_b32 s41, 0x3feec746
	s_mov_b32 s40, s38
	v_add_f64 v[247:248], v[144:145], v[180:181]
	s_mov_b32 s28, 0xc61f0d01
	s_mov_b32 s29, 0xbfd183b1
	v_add_f64 v[237:238], v[146:147], v[182:183]
	v_add_f64 v[245:246], v[180:181], -v[144:145]
	v_add_f64 v[223:224], v[154:155], -v[150:151]
	s_mov_b32 s46, 0x7c9e640b
	s_mov_b32 s47, 0xbfeca52d
	;; [unrolled: 1-line block ×4, first 2 shown]
	v_add_f64 v[221:222], v[152:153], v[148:149]
	s_mov_b32 s34, 0x2b2883cd
	s_mov_b32 s35, 0x3fdc86fa
	;; [unrolled: 1-line block ×4, first 2 shown]
	v_add_f64 v[212:213], v[184:185], v[168:169]
	s_mov_b32 s42, 0x370991
	v_mul_f64 v[38:39], v[249:250], s[40:41]
	s_mov_b32 s43, 0x3fedd6d0
	v_mul_f64 v[192:193], v[16:17], s[16:17]
	v_mul_f64 v[194:195], v[210:211], s[22:23]
	s_mov_b32 s55, 0x3fc7851a
	s_mov_b32 s54, s20
	;; [unrolled: 1-line block ×8, first 2 shown]
	v_mul_f64 v[196:197], v[16:17], s[20:21]
	v_mul_f64 v[198:199], v[210:211], s[24:25]
	s_mov_b32 s57, 0x3fe9895b
	s_mov_b32 s56, s16
	v_mul_f64 v[202:203], v[16:17], s[30:31]
	v_mul_f64 v[206:207], v[210:211], s[26:27]
	;; [unrolled: 1-line block ×3, first 2 shown]
	s_mov_b32 s59, 0x3fefdd0d
	s_mov_b32 s58, s10
	v_fma_f64 v[2:3], v[239:240], s[2:3], -v[2:3]
	v_fma_f64 v[6:7], v[0:1], s[8:9], v[6:7]
	v_fma_f64 v[8:9], v[208:209], s[18:19], -v[8:9]
	v_fma_f64 v[10:11], v[219:220], s[10:11], v[10:11]
	v_fma_f64 v[12:13], v[214:215], s[22:23], -v[12:13]
	v_add_f64 v[2:3], v[140:141], v[2:3]
	v_add_f64 v[6:7], v[142:143], v[6:7]
	;; [unrolled: 1-line block ×4, first 2 shown]
	v_fma_f64 v[8:9], v[231:232], s[16:17], v[28:29]
	v_fma_f64 v[10:11], v[227:228], s[24:25], -v[14:15]
	v_add_f64 v[14:15], v[184:185], -v[168:169]
	v_add_f64 v[2:3], v[12:13], v[2:3]
	v_add_f64 v[6:7], v[8:9], v[6:7]
	v_fma_f64 v[8:9], v[235:236], s[20:21], v[36:37]
	v_add_f64 v[2:3], v[10:11], v[2:3]
	v_add_f64 v[10:11], v[152:153], -v[148:149]
	v_add_f64 v[6:7], v[8:9], v[6:7]
	v_fma_f64 v[8:9], v[243:244], s[26:27], -v[34:35]
	v_add_f64 v[2:3], v[8:9], v[2:3]
	v_mul_f64 v[8:9], v[251:252], s[26:27]
	buffer_store_dword v8, off, s[60:63], 0 offset:24 ; 4-byte Folded Spill
	buffer_store_dword v9, off, s[60:63], 0 offset:28 ; 4-byte Folded Spill
	v_fma_f64 v[8:9], v[253:254], s[30:31], v[8:9]
	v_add_f64 v[6:7], v[8:9], v[6:7]
	v_fma_f64 v[8:9], v[247:248], s[28:29], -v[38:39]
	v_add_f64 v[2:3], v[8:9], v[2:3]
	v_mul_f64 v[8:9], v[237:238], s[28:29]
	buffer_store_dword v8, off, s[60:63], 0 offset:272 ; 4-byte Folded Spill
	buffer_store_dword v9, off, s[60:63], 0 offset:276 ; 4-byte Folded Spill
	v_fma_f64 v[8:9], v[245:246], s[40:41], v[8:9]
	v_add_f64 v[6:7], v[8:9], v[6:7]
	v_mul_f64 v[8:9], v[223:224], s[36:37]
	buffer_store_dword v8, off, s[60:63], 0 offset:264 ; 4-byte Folded Spill
	buffer_store_dword v9, off, s[60:63], 0 offset:268 ; 4-byte Folded Spill
	v_fma_f64 v[8:9], v[221:222], s[34:35], -v[8:9]
	v_add_f64 v[2:3], v[8:9], v[2:3]
	v_add_f64 v[8:9], v[154:155], v[150:151]
	v_mul_f64 v[12:13], v[8:9], s[34:35]
	buffer_store_dword v12, off, s[60:63], 0 offset:288 ; 4-byte Folded Spill
	buffer_store_dword v13, off, s[60:63], 0 offset:292 ; 4-byte Folded Spill
	v_fma_f64 v[12:13], v[10:11], s[36:37], v[12:13]
	v_add_f64 v[190:191], v[12:13], v[6:7]
	v_add_f64 v[6:7], v[186:187], -v[170:171]
	v_mul_f64 v[12:13], v[6:7], s[44:45]
	buffer_store_dword v12, off, s[60:63], 0 offset:280 ; 4-byte Folded Spill
	buffer_store_dword v13, off, s[60:63], 0 offset:284 ; 4-byte Folded Spill
	v_fma_f64 v[12:13], v[212:213], s[42:43], -v[12:13]
	v_add_f64 v[188:189], v[12:13], v[2:3]
	v_add_f64 v[12:13], v[186:187], v[170:171]
	v_mul_f64 v[2:3], v[12:13], s[42:43]
	buffer_store_dword v2, off, s[60:63], 0 offset:296 ; 4-byte Folded Spill
	buffer_store_dword v3, off, s[60:63], 0 offset:300 ; 4-byte Folded Spill
	;; [unrolled: 1-line block ×6, first 2 shown]
	v_fma_f64 v[2:3], v[14:15], s[44:45], v[2:3]
	v_fma_f64 v[192:193], v[208:209], s[22:23], -v[192:193]
	v_fma_f64 v[194:195], v[219:220], s[16:17], v[194:195]
	v_add_f64 v[190:191], v[2:3], v[190:191]
	v_mul_f64 v[2:3], v[233:234], s[46:47]
	v_mov_b32_e32 v19, v3
	v_mov_b32_e32 v18, v2
	v_fma_f64 v[2:3], v[239:240], s[34:35], -v[2:3]
	v_add_f64 v[2:3], v[140:141], v[2:3]
	v_add_f64 v[2:3], v[192:193], v[2:3]
	v_mul_f64 v[192:193], v[4:5], s[34:35]
	v_mov_b32_e32 v24, v192
	v_mov_b32_e32 v25, v193
	v_fma_f64 v[192:193], v[0:1], s[46:47], v[192:193]
	v_add_f64 v[192:193], v[142:143], v[192:193]
	v_add_f64 v[192:193], v[194:195], v[192:193]
	v_mul_f64 v[194:195], v[20:21], s[54:55]
	buffer_store_dword v194, off, s[60:63], 0 offset:376 ; 4-byte Folded Spill
	buffer_store_dword v195, off, s[60:63], 0 offset:380 ; 4-byte Folded Spill
	v_fma_f64 v[194:195], v[214:215], s[24:25], -v[194:195]
	v_add_f64 v[2:3], v[194:195], v[2:3]
	v_mul_f64 v[194:195], v[217:218], s[24:25]
	buffer_store_dword v194, off, s[60:63], 0 offset:416 ; 4-byte Folded Spill
	buffer_store_dword v195, off, s[60:63], 0 offset:420 ; 4-byte Folded Spill
	v_fma_f64 v[194:195], v[231:232], s[54:55], v[194:195]
	v_add_f64 v[192:193], v[194:195], v[192:193]
	v_mul_f64 v[194:195], v[225:226], s[40:41]
	buffer_store_dword v194, off, s[60:63], 0 offset:392 ; 4-byte Folded Spill
	buffer_store_dword v195, off, s[60:63], 0 offset:396 ; 4-byte Folded Spill
	v_fma_f64 v[194:195], v[227:228], s[28:29], -v[194:195]
	v_add_f64 v[2:3], v[194:195], v[2:3]
	v_mul_f64 v[194:195], v[229:230], s[28:29]
	buffer_store_dword v194, off, s[60:63], 0 offset:400 ; 4-byte Folded Spill
	buffer_store_dword v195, off, s[60:63], 0 offset:404 ; 4-byte Folded Spill
	v_fma_f64 v[194:195], v[235:236], s[40:41], v[194:195]
	;; [unrolled: 10-line block ×5, first 2 shown]
	v_add_f64 v[194:195], v[194:195], v[192:193]
	v_mul_f64 v[192:193], v[6:7], s[50:51]
	buffer_store_dword v192, off, s[60:63], 0 offset:312 ; 4-byte Folded Spill
	buffer_store_dword v193, off, s[60:63], 0 offset:316 ; 4-byte Folded Spill
	v_fma_f64 v[192:193], v[212:213], s[26:27], -v[192:193]
	v_add_f64 v[192:193], v[192:193], v[2:3]
	v_mul_f64 v[2:3], v[12:13], s[26:27]
	buffer_store_dword v2, off, s[60:63], 0 offset:368 ; 4-byte Folded Spill
	buffer_store_dword v3, off, s[60:63], 0 offset:372 ; 4-byte Folded Spill
	;; [unrolled: 1-line block ×6, first 2 shown]
	v_fma_f64 v[2:3], v[14:15], s[50:51], v[2:3]
	v_fma_f64 v[196:197], v[208:209], s[24:25], -v[196:197]
	v_fma_f64 v[198:199], v[219:220], s[20:21], v[198:199]
	v_add_f64 v[194:195], v[2:3], v[194:195]
	v_mul_f64 v[2:3], v[233:234], s[10:11]
	v_mov_b32_e32 v23, v3
	v_mov_b32_e32 v22, v2
	v_fma_f64 v[2:3], v[239:240], s[18:19], -v[2:3]
	v_add_f64 v[2:3], v[140:141], v[2:3]
	v_add_f64 v[2:3], v[196:197], v[2:3]
	v_mul_f64 v[196:197], v[4:5], s[18:19]
	v_mov_b32_e32 v26, v196
	v_mov_b32_e32 v27, v197
	v_fma_f64 v[196:197], v[0:1], s[10:11], v[196:197]
	v_add_f64 v[196:197], v[142:143], v[196:197]
	v_add_f64 v[196:197], v[198:199], v[196:197]
	v_mul_f64 v[198:199], v[20:21], s[40:41]
	buffer_store_dword v198, off, s[60:63], 0 offset:472 ; 4-byte Folded Spill
	buffer_store_dword v199, off, s[60:63], 0 offset:476 ; 4-byte Folded Spill
	v_fma_f64 v[198:199], v[214:215], s[28:29], -v[198:199]
	v_add_f64 v[2:3], v[198:199], v[2:3]
	v_mul_f64 v[198:199], v[217:218], s[28:29]
	buffer_store_dword v198, off, s[60:63], 0 offset:512 ; 4-byte Folded Spill
	buffer_store_dword v199, off, s[60:63], 0 offset:516 ; 4-byte Folded Spill
	v_fma_f64 v[198:199], v[231:232], s[40:41], v[198:199]
	v_add_f64 v[196:197], v[198:199], v[196:197]
	v_mul_f64 v[198:199], v[225:226], s[44:45]
	buffer_store_dword v198, off, s[60:63], 0 offset:464 ; 4-byte Folded Spill
	buffer_store_dword v199, off, s[60:63], 0 offset:468 ; 4-byte Folded Spill
	v_fma_f64 v[198:199], v[227:228], s[42:43], -v[198:199]
	v_add_f64 v[2:3], v[198:199], v[2:3]
	v_mul_f64 v[198:199], v[229:230], s[42:43]
	buffer_store_dword v198, off, s[60:63], 0 offset:520 ; 4-byte Folded Spill
	buffer_store_dword v199, off, s[60:63], 0 offset:524 ; 4-byte Folded Spill
	v_fma_f64 v[198:199], v[235:236], s[44:45], v[198:199]
	;; [unrolled: 10-line block ×5, first 2 shown]
	v_add_f64 v[198:199], v[198:199], v[196:197]
	v_mul_f64 v[196:197], v[6:7], s[48:49]
	buffer_store_dword v196, off, s[60:63], 0 offset:432 ; 4-byte Folded Spill
	buffer_store_dword v197, off, s[60:63], 0 offset:436 ; 4-byte Folded Spill
	v_fma_f64 v[196:197], v[212:213], s[2:3], -v[196:197]
	v_add_f64 v[196:197], v[196:197], v[2:3]
	v_mul_f64 v[2:3], v[12:13], s[2:3]
	buffer_store_dword v2, off, s[60:63], 0 offset:456 ; 4-byte Folded Spill
	buffer_store_dword v3, off, s[60:63], 0 offset:460 ; 4-byte Folded Spill
	buffer_store_dword v202, off, s[60:63], 0 offset:584 ; 4-byte Folded Spill
	buffer_store_dword v203, off, s[60:63], 0 offset:588 ; 4-byte Folded Spill
	buffer_store_dword v206, off, s[60:63], 0 offset:608 ; 4-byte Folded Spill
	buffer_store_dword v207, off, s[60:63], 0 offset:612 ; 4-byte Folded Spill
	v_fma_f64 v[2:3], v[14:15], s[48:49], v[2:3]
	v_fma_f64 v[202:203], v[208:209], s[26:27], -v[202:203]
	v_fma_f64 v[206:207], v[219:220], s[30:31], v[206:207]
	v_add_f64 v[198:199], v[2:3], v[198:199]
	v_mul_f64 v[2:3], v[233:234], s[38:39]
	v_fma_f64 v[200:201], v[239:240], s[28:29], -v[2:3]
	v_add_f64 v[200:201], v[140:141], v[200:201]
	v_add_f64 v[200:201], v[202:203], v[200:201]
	v_fma_f64 v[202:203], v[0:1], s[38:39], v[204:205]
	v_add_f64 v[202:203], v[142:143], v[202:203]
	v_add_f64 v[202:203], v[206:207], v[202:203]
	v_mul_f64 v[206:207], v[20:21], s[48:49]
	buffer_store_dword v206, off, s[60:63], 0 offset:592 ; 4-byte Folded Spill
	buffer_store_dword v207, off, s[60:63], 0 offset:596 ; 4-byte Folded Spill
	v_fma_f64 v[206:207], v[214:215], s[2:3], -v[206:207]
	v_add_f64 v[200:201], v[206:207], v[200:201]
	v_mul_f64 v[206:207], v[217:218], s[2:3]
	buffer_store_dword v206, off, s[60:63], 0 offset:616 ; 4-byte Folded Spill
	buffer_store_dword v207, off, s[60:63], 0 offset:620 ; 4-byte Folded Spill
	v_fma_f64 v[206:207], v[231:232], s[48:49], v[206:207]
	v_add_f64 v[202:203], v[206:207], v[202:203]
	v_mul_f64 v[206:207], v[225:226], s[46:47]
	buffer_store_dword v206, off, s[60:63], 0 offset:600 ; 4-byte Folded Spill
	buffer_store_dword v207, off, s[60:63], 0 offset:604 ; 4-byte Folded Spill
	v_fma_f64 v[206:207], v[227:228], s[34:35], -v[206:207]
	v_add_f64 v[200:201], v[206:207], v[200:201]
	v_mul_f64 v[206:207], v[229:230], s[34:35]
	buffer_store_dword v206, off, s[60:63], 0 offset:632 ; 4-byte Folded Spill
	buffer_store_dword v207, off, s[60:63], 0 offset:636 ; 4-byte Folded Spill
	v_fma_f64 v[206:207], v[235:236], s[46:47], v[206:207]
	v_add_f64 v[202:203], v[206:207], v[202:203]
	v_mul_f64 v[206:207], v[241:242], s[20:21]
	buffer_store_dword v206, off, s[60:63], 0 offset:624 ; 4-byte Folded Spill
	buffer_store_dword v207, off, s[60:63], 0 offset:628 ; 4-byte Folded Spill
	v_fma_f64 v[206:207], v[243:244], s[24:25], -v[206:207]
	v_add_f64 v[200:201], v[206:207], v[200:201]
	v_mul_f64 v[206:207], v[251:252], s[24:25]
	buffer_store_dword v206, off, s[60:63], 0 offset:640 ; 4-byte Folded Spill
	buffer_store_dword v207, off, s[60:63], 0 offset:644 ; 4-byte Folded Spill
	v_fma_f64 v[206:207], v[253:254], s[20:21], v[206:207]
	v_add_f64 v[202:203], v[206:207], v[202:203]
	v_mul_f64 v[206:207], v[249:250], s[58:59]
	buffer_store_dword v206, off, s[60:63], 0 offset:560 ; 4-byte Folded Spill
	buffer_store_dword v207, off, s[60:63], 0 offset:564 ; 4-byte Folded Spill
	v_fma_f64 v[206:207], v[247:248], s[18:19], -v[206:207]
	v_add_f64 v[200:201], v[206:207], v[200:201]
	v_mul_f64 v[206:207], v[237:238], s[18:19]
	buffer_store_dword v206, off, s[60:63], 0 offset:648 ; 4-byte Folded Spill
	buffer_store_dword v207, off, s[60:63], 0 offset:652 ; 4-byte Folded Spill
	v_fma_f64 v[206:207], v[245:246], s[58:59], v[206:207]
	v_add_f64 v[202:203], v[206:207], v[202:203]
	v_mul_f64 v[206:207], v[223:224], s[52:53]
	buffer_store_dword v206, off, s[60:63], 0 offset:544 ; 4-byte Folded Spill
	buffer_store_dword v207, off, s[60:63], 0 offset:548 ; 4-byte Folded Spill
	v_fma_f64 v[206:207], v[221:222], s[42:43], -v[206:207]
	v_add_f64 v[200:201], v[206:207], v[200:201]
	v_mul_f64 v[206:207], v[8:9], s[42:43]
	buffer_store_dword v206, off, s[60:63], 0 offset:576 ; 4-byte Folded Spill
	buffer_store_dword v207, off, s[60:63], 0 offset:580 ; 4-byte Folded Spill
	v_fma_f64 v[206:207], v[10:11], s[52:53], v[206:207]
	v_add_f64 v[202:203], v[206:207], v[202:203]
	v_mul_f64 v[206:207], v[6:7], s[16:17]
	buffer_store_dword v206, off, s[60:63], 0 offset:552 ; 4-byte Folded Spill
	buffer_store_dword v207, off, s[60:63], 0 offset:556 ; 4-byte Folded Spill
	v_fma_f64 v[206:207], v[212:213], s[22:23], -v[206:207]
	v_add_f64 v[200:201], v[206:207], v[200:201]
	v_mul_f64 v[206:207], v[12:13], s[22:23]
	buffer_store_dword v206, off, s[60:63], 0 offset:568 ; 4-byte Folded Spill
	buffer_store_dword v207, off, s[60:63], 0 offset:572 ; 4-byte Folded Spill
	s_waitcnt_vscnt null, 0x0
	s_barrier
	buffer_gl0_inv
	v_fma_f64 v[206:207], v[14:15], s[16:17], v[206:207]
	v_add_f64 v[202:203], v[206:207], v[202:203]
	s_and_saveexec_b32 s1, vcc_lo
	s_cbranch_execz .LBB0_17
; %bb.16:
	v_add_f64 v[156:157], v[140:141], v[156:157]
	v_add_f64 v[158:159], v[142:143], v[158:159]
	;; [unrolled: 1-line block ×6, first 2 shown]
	v_mul_f64 v[166:167], v[0:1], s[16:17]
	v_add_f64 v[156:157], v[172:173], v[156:157]
	v_add_f64 v[158:159], v[174:175], v[158:159]
	v_fma_f64 v[172:173], v[4:5], s[22:23], v[166:167]
	v_fma_f64 v[166:167], v[4:5], s[22:23], -v[166:167]
	v_add_f64 v[156:157], v[176:177], v[156:157]
	v_add_f64 v[158:159], v[178:179], v[158:159]
	v_mul_f64 v[178:179], v[233:234], s[16:17]
	v_add_f64 v[172:173], v[142:143], v[172:173]
	v_add_f64 v[166:167], v[142:143], v[166:167]
	;; [unrolled: 1-line block ×4, first 2 shown]
	v_mul_f64 v[180:181], v[233:234], s[52:53]
	v_add_f64 v[152:153], v[152:153], v[156:157]
	v_add_f64 v[154:155], v[154:155], v[158:159]
	;; [unrolled: 1-line block ×4, first 2 shown]
	v_fma_f64 v[186:187], v[239:240], s[22:23], -v[178:179]
	v_fma_f64 v[178:179], v[239:240], s[22:23], v[178:179]
	v_add_f64 v[152:153], v[168:169], v[152:153]
	v_add_f64 v[154:155], v[170:171], v[154:155]
	v_add_f64 v[186:187], v[140:141], v[186:187]
	v_add_f64 v[178:179], v[140:141], v[178:179]
	v_add_f64 v[148:149], v[148:149], v[152:153]
	s_clause 0x1
	buffer_load_dword v152, off, s[60:63], 0 offset:320
	buffer_load_dword v153, off, s[60:63], 0 offset:324
	v_add_f64 v[150:151], v[150:151], v[154:155]
	v_add_f64 v[156:157], v[144:145], v[148:149]
	v_mul_f64 v[144:145], v[0:1], s[38:39]
	v_add_f64 v[154:155], v[146:147], v[150:151]
	v_mul_f64 v[150:151], v[0:1], s[46:47]
	v_mul_f64 v[146:147], v[239:240], s[28:29]
	;; [unrolled: 1-line block ×3, first 2 shown]
	v_add_f64 v[156:157], v[136:137], v[156:157]
	v_add_f64 v[144:145], v[204:205], -v[144:145]
	v_fma_f64 v[204:205], v[239:240], s[42:43], -v[180:181]
	v_add_f64 v[158:159], v[24:25], -v[150:151]
	v_mul_f64 v[150:151], v[239:240], s[34:35]
	v_add_f64 v[2:3], v[146:147], v[2:3]
	v_mul_f64 v[146:147], v[0:1], s[10:11]
	v_add_f64 v[148:149], v[148:149], v[22:23]
	v_fma_f64 v[180:181], v[239:240], s[42:43], v[180:181]
	v_add_f64 v[154:155], v[138:139], v[154:155]
	v_mov_b32_e32 v25, v21
	v_mov_b32_e32 v24, v20
	v_add_f64 v[22:23], v[142:143], v[158:159]
	v_add_f64 v[160:161], v[150:151], v[18:19]
	v_mul_f64 v[150:151], v[0:1], s[8:9]
	v_add_f64 v[146:147], v[26:27], -v[146:147]
	v_add_f64 v[26:27], v[140:141], v[204:205]
	v_add_f64 v[2:3], v[140:141], v[2:3]
	s_waitcnt vmcnt(0)
	v_add_f64 v[162:163], v[152:153], -v[150:151]
	s_clause 0x1
	buffer_load_dword v152, off, s[60:63], 0 offset:304
	buffer_load_dword v153, off, s[60:63], 0 offset:308
	v_mul_f64 v[150:151], v[239:240], s[2:3]
	s_waitcnt vmcnt(0)
	v_add_f64 v[164:165], v[150:151], v[152:153]
	v_mul_f64 v[150:151], v[0:1], s[20:21]
	v_mul_f64 v[152:153], v[0:1], s[50:51]
	v_mul_f64 v[0:1], v[0:1], s[52:53]
	v_fma_f64 v[168:169], v[4:5], s[24:25], v[150:151]
	v_fma_f64 v[150:151], v[4:5], s[24:25], -v[150:151]
	v_fma_f64 v[174:175], v[4:5], s[42:43], v[0:1]
	v_fma_f64 v[176:177], v[4:5], s[42:43], -v[0:1]
	v_mul_f64 v[0:1], v[233:234], s[20:21]
	v_fma_f64 v[170:171], v[4:5], s[26:27], v[152:153]
	v_fma_f64 v[152:153], v[4:5], s[26:27], -v[152:153]
	v_mul_f64 v[4:5], v[233:234], s[50:51]
	v_add_f64 v[168:169], v[142:143], v[168:169]
	v_add_f64 v[206:207], v[142:143], v[150:151]
	;; [unrolled: 1-line block ×3, first 2 shown]
	v_fma_f64 v[182:183], v[239:240], s[24:25], -v[0:1]
	v_fma_f64 v[0:1], v[239:240], s[24:25], v[0:1]
	v_add_f64 v[170:171], v[142:143], v[170:171]
	v_fma_f64 v[184:185], v[239:240], s[26:27], -v[4:5]
	v_fma_f64 v[4:5], v[239:240], s[26:27], v[4:5]
	v_add_f64 v[239:240], v[142:143], v[152:153]
	v_add_f64 v[182:183], v[140:141], v[182:183]
	;; [unrolled: 1-line block ×6, first 2 shown]
	buffer_store_dword v0, off, s[60:63], 0 offset:728 ; 4-byte Folded Spill
	buffer_store_dword v1, off, s[60:63], 0 offset:732 ; 4-byte Folded Spill
	v_add_f64 v[0:1], v[140:141], v[148:149]
	v_mul_f64 v[148:149], v[227:228], s[34:35]
	buffer_store_dword v0, off, s[60:63], 0 offset:720 ; 4-byte Folded Spill
	buffer_store_dword v1, off, s[60:63], 0 offset:724 ; 4-byte Folded Spill
	v_add_f64 v[0:1], v[140:141], v[160:161]
	buffer_store_dword v0, off, s[60:63], 0 offset:704 ; 4-byte Folded Spill
	buffer_store_dword v1, off, s[60:63], 0 offset:708 ; 4-byte Folded Spill
	v_add_f64 v[0:1], v[142:143], v[162:163]
	buffer_store_dword v0, off, s[60:63], 0 offset:712 ; 4-byte Folded Spill
	buffer_store_dword v1, off, s[60:63], 0 offset:716 ; 4-byte Folded Spill
	v_add_f64 v[0:1], v[140:141], v[164:165]
	v_mul_f64 v[164:165], v[219:220], s[44:45]
	buffer_store_dword v0, off, s[60:63], 0 offset:320 ; 4-byte Folded Spill
	buffer_store_dword v1, off, s[60:63], 0 offset:324 ; 4-byte Folded Spill
	v_add_f64 v[0:1], v[142:143], v[174:175]
	v_fma_f64 v[136:137], v[210:211], s[42:43], v[164:165]
	v_mul_f64 v[174:175], v[231:232], s[50:51]
	buffer_store_dword v0, off, s[60:63], 0 offset:304 ; 4-byte Folded Spill
	buffer_store_dword v1, off, s[60:63], 0 offset:308 ; 4-byte Folded Spill
	v_add_f64 v[0:1], v[142:143], v[176:177]
	v_add_f64 v[136:137], v[136:137], v[168:169]
	v_mul_f64 v[168:169], v[16:17], s[44:45]
	v_fma_f64 v[176:177], v[217:218], s[26:27], v[174:175]
	buffer_store_dword v0, off, s[60:63], 0 offset:688 ; 4-byte Folded Spill
	buffer_store_dword v1, off, s[60:63], 0 offset:692 ; 4-byte Folded Spill
	v_add_f64 v[0:1], v[140:141], v[180:181]
	v_fma_f64 v[138:139], v[208:209], s[42:43], -v[168:169]
	v_add_f64 v[136:137], v[176:177], v[136:137]
	v_mul_f64 v[176:177], v[20:21], s[50:51]
	v_mov_b32_e32 v21, v17
	v_mov_b32_e32 v20, v16
	v_mul_f64 v[16:17], v[6:7], s[58:59]
	buffer_store_dword v0, off, s[60:63], 0 offset:696 ; 4-byte Folded Spill
	buffer_store_dword v1, off, s[60:63], 0 offset:700 ; 4-byte Folded Spill
	v_add_f64 v[138:139], v[138:139], v[182:183]
	v_mul_f64 v[0:1], v[14:15], s[58:59]
	v_fma_f64 v[180:181], v[214:215], s[26:27], -v[176:177]
	buffer_store_dword v34, off, s[60:63], 0 offset:736 ; 4-byte Folded Spill
	buffer_store_dword v35, off, s[60:63], 0 offset:740 ; 4-byte Folded Spill
	v_fma_f64 v[18:19], v[212:213], s[18:19], -v[16:17]
	v_fma_f64 v[16:17], v[212:213], s[18:19], v[16:17]
	v_add_f64 v[138:139], v[180:181], v[138:139]
	v_mul_f64 v[180:181], v[235:236], s[48:49]
	v_fma_f64 v[182:183], v[229:230], s[2:3], v[180:181]
	v_add_f64 v[136:137], v[182:183], v[136:137]
	v_mul_f64 v[182:183], v[225:226], s[48:49]
	v_fma_f64 v[204:205], v[227:228], s[2:3], -v[182:183]
	v_add_f64 v[138:139], v[204:205], v[138:139]
	v_mul_f64 v[204:205], v[253:254], s[16:17]
	v_fma_f64 v[158:159], v[251:252], s[22:23], v[204:205]
	v_add_f64 v[136:137], v[158:159], v[136:137]
	v_mul_f64 v[158:159], v[241:242], s[16:17]
	v_fma_f64 v[162:163], v[243:244], s[22:23], -v[158:159]
	v_add_f64 v[138:139], v[162:163], v[138:139]
	v_mul_f64 v[162:163], v[245:246], s[36:37]
	v_fma_f64 v[160:161], v[237:238], s[34:35], v[162:163]
	v_add_f64 v[136:137], v[160:161], v[136:137]
	v_mul_f64 v[160:161], v[249:250], s[36:37]
	v_fma_f64 v[140:141], v[247:248], s[34:35], -v[160:161]
	v_add_f64 v[138:139], v[140:141], v[138:139]
	v_mul_f64 v[140:141], v[10:11], s[38:39]
	v_fma_f64 v[142:143], v[8:9], s[28:29], v[140:141]
	v_fma_f64 v[140:141], v[8:9], s[28:29], -v[140:141]
	v_add_f64 v[136:137], v[142:143], v[136:137]
	v_mul_f64 v[142:143], v[223:224], s[38:39]
	v_fma_f64 v[144:145], v[221:222], s[28:29], -v[142:143]
	v_add_f64 v[144:145], v[144:145], v[138:139]
	v_fma_f64 v[138:139], v[12:13], s[18:19], v[0:1]
	v_fma_f64 v[0:1], v[12:13], s[18:19], -v[0:1]
	v_add_f64 v[138:139], v[138:139], v[136:137]
	v_add_f64 v[136:137], v[18:19], v[144:145]
	;; [unrolled: 1-line block ×3, first 2 shown]
	v_fma_f64 v[132:133], v[210:211], s[42:43], -v[164:165]
	v_add_f64 v[18:19], v[134:135], v[154:155]
	v_fma_f64 v[134:135], v[208:209], s[42:43], v[168:169]
	v_fma_f64 v[154:155], v[217:218], s[26:27], -v[174:175]
	v_mul_f64 v[156:157], v[225:226], s[56:57]
	v_mul_f64 v[164:165], v[249:250], s[20:21]
	;; [unrolled: 1-line block ×4, first 2 shown]
	v_add_f64 v[132:133], v[132:133], v[206:207]
	v_mul_f64 v[206:207], v[243:244], s[24:25]
	v_add_f64 v[134:135], v[134:135], v[233:234]
	v_mul_f64 v[233:234], v[208:209], s[26:27]
	v_add_f64 v[132:133], v[154:155], v[132:133]
	v_fma_f64 v[154:155], v[214:215], s[26:27], v[176:177]
	v_mul_f64 v[176:177], v[14:15], s[38:39]
	v_add_f64 v[134:135], v[154:155], v[134:135]
	v_fma_f64 v[154:155], v[229:230], s[2:3], -v[180:181]
	v_mul_f64 v[180:181], v[6:7], s[38:39]
	v_add_f64 v[132:133], v[154:155], v[132:133]
	v_fma_f64 v[154:155], v[227:228], s[2:3], v[182:183]
	v_mul_f64 v[182:183], v[253:254], s[20:21]
	v_add_f64 v[134:135], v[154:155], v[134:135]
	v_fma_f64 v[154:155], v[251:252], s[22:23], -v[204:205]
	;; [unrolled: 6-line block ×3, first 2 shown]
	v_mul_f64 v[162:163], v[245:246], s[20:21]
	v_add_f64 v[132:133], v[154:155], v[132:133]
	v_fma_f64 v[154:155], v[247:248], s[34:35], v[160:161]
	v_mul_f64 v[160:161], v[241:242], s[52:53]
	v_add_f64 v[132:133], v[140:141], v[132:133]
	v_add_f64 v[134:135], v[154:155], v[134:135]
	v_fma_f64 v[140:141], v[221:222], s[28:29], v[142:143]
	v_mul_f64 v[142:143], v[231:232], s[10:11]
	v_mul_f64 v[154:155], v[235:236], s[56:57]
	v_add_f64 v[140:141], v[140:141], v[134:135]
	v_add_f64 v[134:135], v[0:1], v[132:133]
	;; [unrolled: 1-line block ×3, first 2 shown]
	v_mul_f64 v[18:19], v[219:220], s[36:37]
	v_add_f64 v[132:133], v[16:17], v[140:141]
	v_mul_f64 v[140:141], v[20:21], s[36:37]
	v_add_f64 v[16:17], v[128:129], v[144:145]
	v_fma_f64 v[128:129], v[210:211], s[34:35], -v[18:19]
	v_mul_f64 v[144:145], v[24:25], s[10:11]
	v_add_f64 v[0:1], v[126:127], v[0:1]
	v_fma_f64 v[18:19], v[210:211], s[34:35], v[18:19]
	v_fma_f64 v[130:131], v[208:209], s[34:35], v[140:141]
	v_fma_f64 v[140:141], v[208:209], s[34:35], -v[140:141]
	v_add_f64 v[128:129], v[128:129], v[239:240]
	v_mul_f64 v[239:240], v[214:215], s[2:3]
	v_add_f64 v[18:19], v[18:19], v[170:171]
	v_mul_f64 v[170:171], v[219:220], s[40:41]
	v_add_f64 v[4:5], v[130:131], v[4:5]
	v_fma_f64 v[130:131], v[217:218], s[18:19], -v[142:143]
	v_fma_f64 v[142:143], v[217:218], s[18:19], v[142:143]
	v_add_f64 v[140:141], v[140:141], v[184:185]
	v_fma_f64 v[184:185], v[210:211], s[28:29], v[170:171]
	v_fma_f64 v[170:171], v[210:211], s[28:29], -v[170:171]
	v_add_f64 v[128:129], v[130:131], v[128:129]
	v_fma_f64 v[130:131], v[214:215], s[18:19], v[144:145]
	v_add_f64 v[18:19], v[142:143], v[18:19]
	v_fma_f64 v[142:143], v[214:215], s[18:19], -v[144:145]
	v_add_f64 v[172:173], v[184:185], v[172:173]
	v_mul_f64 v[184:185], v[20:21], s[40:41]
	v_add_f64 v[166:167], v[170:171], v[166:167]
	v_add_f64 v[4:5], v[130:131], v[4:5]
	v_fma_f64 v[130:131], v[229:230], s[22:23], -v[154:155]
	v_add_f64 v[140:141], v[142:143], v[140:141]
	v_mul_f64 v[142:143], v[231:232], s[52:53]
	v_fma_f64 v[170:171], v[208:209], s[28:29], v[184:185]
	v_add_f64 v[128:129], v[130:131], v[128:129]
	v_fma_f64 v[130:131], v[227:228], s[22:23], v[156:157]
	v_fma_f64 v[144:145], v[217:218], s[42:43], v[142:143]
	v_fma_f64 v[142:143], v[217:218], s[42:43], -v[142:143]
	v_add_f64 v[170:171], v[170:171], v[178:179]
	v_mul_f64 v[178:179], v[227:228], s[28:29]
	v_add_f64 v[4:5], v[130:131], v[4:5]
	v_fma_f64 v[130:131], v[251:252], s[42:43], -v[158:159]
	v_add_f64 v[144:145], v[144:145], v[172:173]
	v_add_f64 v[142:143], v[142:143], v[166:167]
	v_add_f64 v[128:129], v[130:131], v[128:129]
	v_fma_f64 v[130:131], v[243:244], s[42:43], v[160:161]
	v_add_f64 v[4:5], v[130:131], v[4:5]
	v_fma_f64 v[130:131], v[237:238], s[24:25], -v[162:163]
	v_add_f64 v[128:129], v[130:131], v[128:129]
	v_fma_f64 v[130:131], v[247:248], s[24:25], v[164:165]
	v_add_f64 v[4:5], v[130:131], v[4:5]
	v_fma_f64 v[130:131], v[8:9], s[2:3], -v[168:169]
	v_add_f64 v[128:129], v[130:131], v[128:129]
	v_fma_f64 v[130:131], v[221:222], s[2:3], v[174:175]
	v_add_f64 v[4:5], v[130:131], v[4:5]
	v_fma_f64 v[130:131], v[12:13], s[28:29], -v[176:177]
	v_fma_f64 v[176:177], v[12:13], s[28:29], v[176:177]
	v_add_f64 v[130:131], v[130:131], v[128:129]
	v_fma_f64 v[128:129], v[212:213], s[28:29], v[180:181]
	v_fma_f64 v[180:181], v[212:213], s[28:29], -v[180:181]
	v_add_f64 v[128:129], v[128:129], v[4:5]
	v_add_f64 v[4:5], v[124:125], v[16:17]
	s_clause 0x5
	buffer_load_dword v124, off, s[60:63], 0 offset:608
	buffer_load_dword v125, off, s[60:63], 0 offset:612
	;; [unrolled: 1-line block ×6, first 2 shown]
	v_mul_f64 v[16:17], v[219:220], s[30:31]
	s_waitcnt vmcnt(4)
	v_add_f64 v[16:17], v[124:125], -v[16:17]
	v_mul_f64 v[124:125], v[231:232], s[48:49]
	v_add_f64 v[16:17], v[16:17], v[150:151]
	s_waitcnt vmcnt(2)
	v_add_f64 v[124:125], v[126:127], -v[124:125]
	v_mul_f64 v[126:127], v[235:236], s[46:47]
	v_mul_f64 v[150:151], v[24:25], s[52:53]
	v_add_f64 v[16:17], v[124:125], v[16:17]
	s_waitcnt vmcnt(0)
	v_add_f64 v[126:127], v[146:147], -v[126:127]
	s_clause 0x1
	buffer_load_dword v146, off, s[60:63], 0 offset:640
	buffer_load_dword v147, off, s[60:63], 0 offset:644
	v_fma_f64 v[124:125], v[229:230], s[22:23], v[154:155]
	v_fma_f64 v[172:173], v[214:215], s[42:43], -v[150:151]
	v_fma_f64 v[150:151], v[214:215], s[42:43], v[150:151]
	v_add_f64 v[16:17], v[126:127], v[16:17]
	v_fma_f64 v[126:127], v[251:252], s[42:43], v[158:159]
	v_add_f64 v[18:19], v[124:125], v[18:19]
	v_fma_f64 v[124:125], v[227:228], s[22:23], -v[156:157]
	v_add_f64 v[150:151], v[150:151], v[170:171]
	v_mul_f64 v[170:171], v[227:228], s[42:43]
	v_add_f64 v[18:19], v[126:127], v[18:19]
	v_add_f64 v[124:125], v[124:125], v[140:141]
	v_mul_f64 v[140:141], v[235:236], s[50:51]
	v_fma_f64 v[126:127], v[243:244], s[42:43], -v[160:161]
	v_fma_f64 v[154:155], v[229:230], s[26:27], v[140:141]
	v_fma_f64 v[140:141], v[229:230], s[26:27], -v[140:141]
	v_add_f64 v[124:125], v[126:127], v[124:125]
	v_mul_f64 v[126:127], v[253:254], s[58:59]
	v_add_f64 v[144:145], v[154:155], v[144:145]
	v_mul_f64 v[154:155], v[225:226], s[50:51]
	v_add_f64 v[140:141], v[140:141], v[142:143]
	v_fma_f64 v[142:143], v[227:228], s[26:27], v[154:155]
	v_fma_f64 v[156:157], v[227:228], s[26:27], -v[154:155]
	v_add_f64 v[142:143], v[142:143], v[150:151]
	v_fma_f64 v[150:151], v[251:252], s[18:19], v[126:127]
	v_fma_f64 v[126:127], v[251:252], s[18:19], -v[126:127]
	v_add_f64 v[144:145], v[150:151], v[144:145]
	v_mul_f64 v[150:151], v[241:242], s[58:59]
	v_add_f64 v[126:127], v[126:127], v[140:141]
	v_fma_f64 v[140:141], v[243:244], s[18:19], v[150:151]
	v_fma_f64 v[154:155], v[243:244], s[18:19], -v[150:151]
	v_add_f64 v[140:141], v[140:141], v[142:143]
	v_fma_f64 v[142:143], v[237:238], s[24:25], v[162:163]
	v_add_f64 v[18:19], v[142:143], v[18:19]
	v_fma_f64 v[142:143], v[247:248], s[24:25], -v[164:165]
	v_add_f64 v[124:125], v[142:143], v[124:125]
	v_mul_f64 v[142:143], v[245:246], s[8:9]
	v_fma_f64 v[150:151], v[237:238], s[2:3], v[142:143]
	v_fma_f64 v[142:143], v[237:238], s[2:3], -v[142:143]
	v_add_f64 v[144:145], v[150:151], v[144:145]
	v_mul_f64 v[150:151], v[249:250], s[8:9]
	v_add_f64 v[126:127], v[142:143], v[126:127]
	v_fma_f64 v[142:143], v[247:248], s[2:3], v[150:151]
	s_waitcnt vmcnt(0)
	v_add_f64 v[182:183], v[146:147], -v[182:183]
	s_clause 0x1
	buffer_load_dword v146, off, s[60:63], 0 offset:648
	buffer_load_dword v147, off, s[60:63], 0 offset:652
	v_add_f64 v[140:141], v[142:143], v[140:141]
	v_fma_f64 v[142:143], v[8:9], s[2:3], v[168:169]
	v_add_f64 v[16:17], v[182:183], v[16:17]
	v_mul_f64 v[182:183], v[231:232], s[16:17]
	v_add_f64 v[18:19], v[142:143], v[18:19]
	v_fma_f64 v[142:143], v[221:222], s[2:3], -v[174:175]
	v_mul_f64 v[174:175], v[235:236], s[40:41]
	v_add_f64 v[182:183], v[28:29], -v[182:183]
	s_waitcnt vmcnt(0)
	v_add_f64 v[204:205], v[146:147], -v[204:205]
	s_clause 0x1
	buffer_load_dword v146, off, s[60:63], 0 offset:624
	buffer_load_dword v147, off, s[60:63], 0 offset:628
	v_add_f64 v[16:17], v[204:205], v[16:17]
	s_waitcnt vmcnt(0)
	v_add_f64 v[206:207], v[206:207], v[146:147]
	s_clause 0x1
	buffer_load_dword v146, off, s[60:63], 0 offset:584
	buffer_load_dword v147, off, s[60:63], 0 offset:588
	s_waitcnt vmcnt(0)
	v_add_f64 v[233:234], v[233:234], v[146:147]
	s_clause 0x1
	buffer_load_dword v146, off, s[60:63], 0 offset:592
	buffer_load_dword v147, off, s[60:63], 0 offset:596
	v_add_f64 v[2:3], v[233:234], v[2:3]
	s_waitcnt vmcnt(0)
	v_add_f64 v[239:240], v[239:240], v[146:147]
	s_clause 0x3
	buffer_load_dword v146, off, s[60:63], 0 offset:600
	buffer_load_dword v147, off, s[60:63], 0 offset:604
	buffer_load_dword v152, off, s[60:63], 0 offset:536
	buffer_load_dword v153, off, s[60:63], 0 offset:540
	v_add_f64 v[2:3], v[239:240], v[2:3]
	s_waitcnt vmcnt(2)
	v_add_f64 v[148:149], v[148:149], v[146:147]
	v_mul_f64 v[146:147], v[219:220], s[20:21]
	v_add_f64 v[2:3], v[148:149], v[2:3]
	s_waitcnt vmcnt(0)
	v_add_f64 v[146:147], v[152:153], -v[146:147]
	v_fma_f64 v[152:153], v[208:209], s[28:29], -v[184:185]
	v_mul_f64 v[184:185], v[214:215], s[24:25]
	v_add_f64 v[2:3], v[206:207], v[2:3]
	v_mul_f64 v[206:207], v[235:236], s[20:21]
	v_add_f64 v[152:153], v[152:153], v[186:187]
	v_mul_f64 v[186:187], v[219:220], s[8:9]
	v_add_f64 v[206:207], v[36:37], -v[206:207]
	v_add_f64 v[152:153], v[172:173], v[152:153]
	v_mul_f64 v[172:173], v[208:209], s[22:23]
	v_fma_f64 v[204:205], v[210:211], s[2:3], -v[186:187]
	v_fma_f64 v[186:187], v[210:211], s[2:3], v[186:187]
	v_mul_f64 v[210:211], v[20:21], s[8:9]
	v_add_f64 v[152:153], v[156:157], v[152:153]
	v_add_f64 v[152:153], v[154:155], v[152:153]
	v_fma_f64 v[154:155], v[247:248], s[2:3], -v[150:151]
	s_clause 0x7
	buffer_load_dword v150, off, s[60:63], 0 offset:512
	buffer_load_dword v151, off, s[60:63], 0 offset:516
	;; [unrolled: 1-line block ×8, first 2 shown]
	v_add_f64 v[152:153], v[154:155], v[152:153]
	v_add_f64 v[154:155], v[142:143], v[124:125]
	v_mul_f64 v[124:125], v[10:11], s[20:21]
	v_fma_f64 v[142:143], v[8:9], s[24:25], -v[124:125]
	v_fma_f64 v[124:125], v[8:9], s[24:25], v[124:125]
	v_add_f64 v[126:127], v[142:143], v[126:127]
	v_mul_f64 v[142:143], v[231:232], s[40:41]
	s_waitcnt vmcnt(6)
	v_add_f64 v[142:143], v[150:151], -v[142:143]
	v_mul_f64 v[150:151], v[235:236], s[44:45]
	s_waitcnt vmcnt(4)
	v_add_f64 v[146:147], v[146:147], v[34:35]
	s_waitcnt vmcnt(2)
	v_add_f64 v[150:151], v[156:157], -v[150:151]
	s_clause 0x1
	buffer_load_dword v156, off, s[60:63], 0 offset:528
	buffer_load_dword v157, off, s[60:63], 0 offset:532
	v_add_f64 v[142:143], v[142:143], v[146:147]
	v_mul_f64 v[146:147], v[10:11], s[52:53]
	v_add_f64 v[142:143], v[150:151], v[142:143]
	s_waitcnt vmcnt(2)
	v_add_f64 v[146:147], v[148:149], -v[146:147]
	v_mul_f64 v[148:149], v[253:254], s[46:47]
	v_mul_f64 v[150:151], v[247:248], s[18:19]
	v_add_f64 v[16:17], v[146:147], v[16:17]
	v_mul_f64 v[146:147], v[212:213], s[22:23]
	s_waitcnt vmcnt(0)
	v_add_f64 v[148:149], v[156:157], -v[148:149]
	s_clause 0x7
	buffer_load_dword v156, off, s[60:63], 0 offset:560
	buffer_load_dword v157, off, s[60:63], 0 offset:564
	;; [unrolled: 1-line block ×8, first 2 shown]
	v_add_f64 v[142:143], v[148:149], v[142:143]
	v_mul_f64 v[148:149], v[14:15], s[16:17]
	s_waitcnt vmcnt(6)
	v_add_f64 v[150:151], v[150:151], v[156:157]
	v_mul_f64 v[156:157], v[208:209], s[24:25]
	v_add_f64 v[2:3], v[150:151], v[2:3]
	s_waitcnt vmcnt(4)
	v_add_f64 v[156:157], v[156:157], v[158:159]
	v_mul_f64 v[158:159], v[219:220], s[16:17]
	v_mul_f64 v[150:151], v[231:232], s[54:55]
	;; [unrolled: 1-line block ×3, first 2 shown]
	s_waitcnt vmcnt(2)
	v_add_f64 v[158:159], v[160:161], -v[158:159]
	v_mul_f64 v[160:161], v[245:246], s[50:51]
	v_fma_f64 v[233:234], v[217:218], s[34:35], -v[231:232]
	v_fma_f64 v[217:218], v[217:218], s[34:35], v[231:232]
	v_mul_f64 v[231:232], v[24:25], s[46:47]
	v_add_f64 v[158:159], v[158:159], v[22:23]
	s_waitcnt vmcnt(0)
	v_add_f64 v[160:161], v[162:163], -v[160:161]
	s_clause 0x1
	buffer_load_dword v162, off, s[60:63], 0 offset:568
	buffer_load_dword v163, off, s[60:63], 0 offset:572
	v_fma_f64 v[239:240], v[214:215], s[34:35], v[231:232]
	v_add_f64 v[142:143], v[160:161], v[142:143]
	v_mul_f64 v[160:161], v[243:244], s[34:35]
	s_waitcnt vmcnt(0)
	v_add_f64 v[148:149], v[162:163], -v[148:149]
	s_clause 0x7
	buffer_load_dword v162, off, s[60:63], 0 offset:552
	buffer_load_dword v163, off, s[60:63], 0 offset:556
	buffer_load_dword v164, off, s[60:63], 0 offset:544
	buffer_load_dword v165, off, s[60:63], 0 offset:548
	buffer_load_dword v166, off, s[60:63], 0 offset:472
	buffer_load_dword v167, off, s[60:63], 0 offset:476
	buffer_load_dword v34, off, s[60:63], 0 offset:720
	buffer_load_dword v35, off, s[60:63], 0 offset:724
	s_waitcnt vmcnt(6)
	v_add_f64 v[162:163], v[146:147], v[162:163]
	v_mul_f64 v[146:147], v[221:222], s[42:43]
	s_waitcnt vmcnt(0)
	v_add_f64 v[156:157], v[156:157], v[34:35]
	v_add_f64 v[146:147], v[146:147], v[164:165]
	v_mul_f64 v[164:165], v[214:215], s[28:29]
	v_add_f64 v[164:165], v[164:165], v[166:167]
	s_clause 0x3
	buffer_load_dword v166, off, s[60:63], 0 offset:416
	buffer_load_dword v167, off, s[60:63], 0 offset:420
	;; [unrolled: 1-line block ×4, first 2 shown]
	v_add_f64 v[156:157], v[164:165], v[156:157]
	v_mul_f64 v[164:165], v[253:254], s[48:49]
	s_waitcnt vmcnt(2)
	v_add_f64 v[150:151], v[166:167], -v[150:151]
	v_mul_f64 v[166:167], v[10:11], s[56:57]
	v_add_f64 v[150:151], v[150:151], v[158:159]
	s_waitcnt vmcnt(0)
	v_add_f64 v[166:167], v[168:169], -v[166:167]
	s_clause 0x3
	buffer_load_dword v168, off, s[60:63], 0 offset:480
	buffer_load_dword v169, off, s[60:63], 0 offset:484
	buffer_load_dword v22, off, s[60:63], 0 offset:664
	buffer_load_dword v23, off, s[60:63], 0 offset:668
	v_mul_f64 v[158:159], v[208:209], s[18:19]
	v_add_f64 v[142:143], v[166:167], v[142:143]
	v_mul_f64 v[166:167], v[212:213], s[2:3]
	s_waitcnt vmcnt(2)
	v_add_f64 v[160:161], v[160:161], v[168:169]
	v_mul_f64 v[168:169], v[219:220], s[10:11]
	v_fma_f64 v[219:220], v[208:209], s[2:3], v[210:211]
	v_fma_f64 v[208:209], v[208:209], s[2:3], -v[210:211]
	v_mul_f64 v[210:211], v[214:215], s[22:23]
	v_fma_f64 v[214:215], v[214:215], s[34:35], -v[231:232]
	s_waitcnt vmcnt(0)
	v_add_f64 v[168:169], v[22:23], -v[168:169]
	s_clause 0x1
	buffer_load_dword v22, off, s[60:63], 0 offset:464
	buffer_load_dword v23, off, s[60:63], 0 offset:468
	v_add_f64 v[208:209], v[208:209], v[26:27]
	v_add_f64 v[208:209], v[214:215], v[208:209]
	v_mul_f64 v[214:215], v[253:254], s[38:39]
	s_waitcnt vmcnt(0)
	v_add_f64 v[170:171], v[170:171], v[22:23]
	s_clause 0x1
	buffer_load_dword v22, off, s[60:63], 0 offset:384
	buffer_load_dword v23, off, s[60:63], 0 offset:388
	v_add_f64 v[156:157], v[170:171], v[156:157]
	v_mul_f64 v[170:171], v[247:248], s[26:27]
	v_add_f64 v[156:157], v[160:161], v[156:157]
	v_mul_f64 v[160:161], v[221:222], s[22:23]
	s_waitcnt vmcnt(0)
	v_add_f64 v[172:173], v[172:173], v[22:23]
	s_clause 0x1
	buffer_load_dword v22, off, s[60:63], 0 offset:408
	buffer_load_dword v23, off, s[60:63], 0 offset:412
	s_waitcnt vmcnt(0)
	v_add_f64 v[164:165], v[22:23], -v[164:165]
	s_clause 0x1
	buffer_load_dword v22, off, s[60:63], 0 offset:400
	buffer_load_dword v23, off, s[60:63], 0 offset:404
	s_waitcnt vmcnt(0)
	v_add_f64 v[174:175], v[22:23], -v[174:175]
	s_clause 0x1
	buffer_load_dword v22, off, s[60:63], 0 offset:656
	buffer_load_dword v23, off, s[60:63], 0 offset:660
	v_add_f64 v[150:151], v[174:175], v[150:151]
	v_mul_f64 v[174:175], v[243:244], s[2:3]
	v_add_f64 v[150:151], v[164:165], v[150:151]
	v_mul_f64 v[164:165], v[247:248], s[42:43]
	s_waitcnt vmcnt(0)
	v_add_f64 v[158:159], v[158:159], v[22:23]
	s_clause 0x1
	buffer_load_dword v22, off, s[60:63], 0 offset:392
	buffer_load_dword v23, off, s[60:63], 0 offset:396
	s_waitcnt vmcnt(0)
	v_add_f64 v[178:179], v[178:179], v[22:23]
	s_clause 0x1
	buffer_load_dword v22, off, s[60:63], 0 offset:712
	buffer_load_dword v23, off, s[60:63], 0 offset:716
	;; [unrolled: 5-line block ×3, first 2 shown]
	v_add_f64 v[168:169], v[182:183], v[168:169]
	v_mul_f64 v[182:183], v[227:228], s[24:25]
	v_add_f64 v[168:169], v[206:207], v[168:169]
	v_mul_f64 v[206:207], v[243:244], s[26:27]
	s_waitcnt vmcnt(0)
	v_add_f64 v[184:185], v[184:185], v[22:23]
	s_clause 0x3
	buffer_load_dword v22, off, s[60:63], 0 offset:704
	buffer_load_dword v23, off, s[60:63], 0 offset:708
	;; [unrolled: 1-line block ×4, first 2 shown]
	s_waitcnt vmcnt(2)
	v_add_f64 v[172:173], v[172:173], v[22:23]
	s_waitcnt vmcnt(0)
	v_add_f64 v[210:211], v[210:211], v[20:21]
	s_clause 0x1
	buffer_load_dword v20, off, s[60:63], 0 offset:320
	buffer_load_dword v21, off, s[60:63], 0 offset:324
	v_add_f64 v[172:173], v[184:185], v[172:173]
	v_mul_f64 v[184:185], v[253:254], s[30:31]
	v_add_f64 v[172:173], v[178:179], v[172:173]
	v_mul_f64 v[178:179], v[245:246], s[52:53]
	s_waitcnt vmcnt(0)
	v_add_f64 v[158:159], v[158:159], v[20:21]
	s_clause 0x1
	buffer_load_dword v20, off, s[60:63], 0 offset:688
	buffer_load_dword v21, off, s[60:63], 0 offset:692
	v_add_f64 v[158:159], v[210:211], v[158:159]
	s_waitcnt vmcnt(0)
	v_add_f64 v[204:205], v[204:205], v[20:21]
	s_clause 0x1
	buffer_load_dword v20, off, s[60:63], 0 offset:696
	buffer_load_dword v21, off, s[60:63], 0 offset:700
	v_add_f64 v[204:205], v[233:234], v[204:205]
	;; [unrolled: 6-line block ×3, first 2 shown]
	v_mul_f64 v[219:220], v[235:236], s[10:11]
	v_fma_f64 v[231:232], v[229:230], s[18:19], -v[219:220]
	v_fma_f64 v[219:220], v[229:230], s[18:19], v[219:220]
	v_add_f64 v[204:205], v[231:232], v[204:205]
	s_waitcnt vmcnt(0)
	v_add_f64 v[182:183], v[182:183], v[20:21]
	s_clause 0x1
	buffer_load_dword v20, off, s[60:63], 0 offset:304
	buffer_load_dword v21, off, s[60:63], 0 offset:308
	v_add_f64 v[158:159], v[182:183], v[158:159]
	v_mul_f64 v[182:183], v[245:246], s[40:41]
	s_waitcnt vmcnt(0)
	v_add_f64 v[186:187], v[186:187], v[20:21]
	s_clause 0x1
	buffer_load_dword v20, off, s[60:63], 0 offset:360
	buffer_load_dword v21, off, s[60:63], 0 offset:364
	v_add_f64 v[186:187], v[217:218], v[186:187]
	v_mul_f64 v[217:218], v[225:226], s[10:11]
	v_add_f64 v[186:187], v[219:220], v[186:187]
	v_fma_f64 v[225:226], v[227:228], s[18:19], v[217:218]
	v_fma_f64 v[217:218], v[227:228], s[18:19], -v[217:218]
	v_mul_f64 v[219:220], v[241:242], s[38:39]
	v_add_f64 v[210:211], v[225:226], v[210:211]
	v_fma_f64 v[225:226], v[251:252], s[28:29], -v[214:215]
	v_fma_f64 v[214:215], v[251:252], s[28:29], v[214:215]
	v_add_f64 v[208:209], v[217:218], v[208:209]
	v_mul_f64 v[217:218], v[245:246], s[16:17]
	v_fma_f64 v[227:228], v[243:244], s[28:29], v[219:220]
	v_fma_f64 v[219:220], v[243:244], s[28:29], -v[219:220]
	v_add_f64 v[204:205], v[225:226], v[204:205]
	v_add_f64 v[186:187], v[214:215], v[186:187]
	v_mul_f64 v[214:215], v[249:250], s[16:17]
	v_fma_f64 v[225:226], v[237:238], s[22:23], -v[217:218]
	v_fma_f64 v[217:218], v[237:238], s[22:23], v[217:218]
	v_add_f64 v[210:211], v[227:228], v[210:211]
	v_add_f64 v[208:209], v[219:220], v[208:209]
	v_fma_f64 v[227:228], v[247:248], s[22:23], v[214:215]
	v_fma_f64 v[214:215], v[247:248], s[22:23], -v[214:215]
	v_add_f64 v[204:205], v[225:226], v[204:205]
	v_add_f64 v[225:226], v[124:125], v[144:145]
	;; [unrolled: 1-line block ×5, first 2 shown]
	v_mul_f64 v[214:215], v[212:213], s[42:43]
	s_waitcnt vmcnt(0)
	v_add_f64 v[174:175], v[174:175], v[20:21]
	s_clause 0x1
	buffer_load_dword v20, off, s[60:63], 0 offset:24
	buffer_load_dword v21, off, s[60:63], 0 offset:28
	v_add_f64 v[172:173], v[174:175], v[172:173]
	v_mul_f64 v[174:175], v[10:11], s[10:11]
	s_waitcnt vmcnt(0)
	v_add_f64 v[184:185], v[20:21], -v[184:185]
	s_clause 0x1
	buffer_load_dword v20, off, s[60:63], 0 offset:736
	buffer_load_dword v21, off, s[60:63], 0 offset:740
	v_add_f64 v[168:169], v[184:185], v[168:169]
	v_mul_f64 v[184:185], v[247:248], s[28:29]
	v_add_f64 v[184:185], v[184:185], v[38:39]
	s_waitcnt vmcnt(0)
	v_add_f64 v[206:207], v[206:207], v[20:21]
	s_clause 0x1
	buffer_load_dword v20, off, s[60:63], 0 offset:448
	buffer_load_dword v21, off, s[60:63], 0 offset:452
	v_add_f64 v[158:159], v[206:207], v[158:159]
	v_mul_f64 v[206:207], v[10:11], s[36:37]
	v_mul_f64 v[10:11], v[10:11], s[50:51]
	v_add_f64 v[158:159], v[184:185], v[158:159]
	v_mul_f64 v[184:185], v[14:15], s[44:45]
	s_waitcnt vmcnt(0)
	v_add_f64 v[170:171], v[170:171], v[20:21]
	s_clause 0x1
	buffer_load_dword v20, off, s[60:63], 0 offset:352
	buffer_load_dword v21, off, s[60:63], 0 offset:356
	v_add_f64 v[156:157], v[170:171], v[156:157]
	v_mul_f64 v[170:171], v[14:15], s[48:49]
	s_waitcnt vmcnt(0)
	v_add_f64 v[178:179], v[20:21], -v[178:179]
	s_clause 0x1
	buffer_load_dword v20, off, s[60:63], 0 offset:344
	buffer_load_dword v21, off, s[60:63], 0 offset:348
	v_add_f64 v[150:151], v[178:179], v[150:151]
	v_mul_f64 v[178:179], v[221:222], s[18:19]
	s_waitcnt vmcnt(0)
	v_add_f64 v[164:165], v[164:165], v[20:21]
	s_clause 0x1
	buffer_load_dword v20, off, s[60:63], 0 offset:272
	buffer_load_dword v21, off, s[60:63], 0 offset:276
	v_add_f64 v[164:165], v[164:165], v[172:173]
	v_mul_f64 v[172:173], v[14:15], s[50:51]
	s_waitcnt vmcnt(0)
	v_add_f64 v[182:183], v[20:21], -v[182:183]
	s_clause 0x1
	buffer_load_dword v20, off, s[60:63], 0 offset:440
	buffer_load_dword v21, off, s[60:63], 0 offset:444
	v_add_f64 v[168:169], v[182:183], v[168:169]
	v_mul_f64 v[182:183], v[221:222], s[34:35]
	s_waitcnt vmcnt(0)
	v_add_f64 v[160:161], v[160:161], v[20:21]
	s_clause 0x1
	buffer_load_dword v20, off, s[60:63], 0 offset:336
	buffer_load_dword v21, off, s[60:63], 0 offset:340
	v_add_f64 v[156:157], v[160:161], v[156:157]
	s_waitcnt vmcnt(0)
	v_add_f64 v[174:175], v[20:21], -v[174:175]
	s_clause 0x1
	buffer_load_dword v20, off, s[60:63], 0 offset:328
	buffer_load_dword v21, off, s[60:63], 0 offset:332
	v_add_f64 v[150:151], v[174:175], v[150:151]
	v_mul_f64 v[174:175], v[212:213], s[26:27]
	s_waitcnt vmcnt(0)
	v_add_f64 v[178:179], v[178:179], v[20:21]
	s_clause 0x1
	buffer_load_dword v20, off, s[60:63], 0 offset:288
	buffer_load_dword v21, off, s[60:63], 0 offset:292
	v_add_f64 v[164:165], v[178:179], v[164:165]
	s_waitcnt vmcnt(0)
	v_add_f64 v[206:207], v[20:21], -v[206:207]
	s_clause 0x1
	buffer_load_dword v20, off, s[60:63], 0 offset:264
	buffer_load_dword v21, off, s[60:63], 0 offset:268
	v_add_f64 v[168:169], v[206:207], v[168:169]
	v_fma_f64 v[206:207], v[8:9], s[26:27], -v[10:11]
	v_fma_f64 v[8:9], v[8:9], s[26:27], v[10:11]
	v_add_f64 v[10:11], v[217:218], v[186:187]
	v_mul_f64 v[186:187], v[223:224], s[20:21]
	v_mul_f64 v[217:218], v[223:224], s[50:51]
	v_add_f64 v[204:205], v[206:207], v[204:205]
	v_mul_f64 v[206:207], v[14:15], s[36:37]
	v_mul_f64 v[14:15], v[14:15], s[20:21]
	v_fma_f64 v[219:220], v[221:222], s[24:25], -v[186:187]
	v_fma_f64 v[186:187], v[221:222], s[24:25], v[186:187]
	v_fma_f64 v[223:224], v[221:222], s[26:27], v[217:218]
	v_fma_f64 v[217:218], v[221:222], s[26:27], -v[217:218]
	v_mul_f64 v[221:222], v[6:7], s[20:21]
	v_mul_f64 v[6:7], v[6:7], s[36:37]
	v_fma_f64 v[227:228], v[12:13], s[24:25], v[14:15]
	v_add_f64 v[152:153], v[219:220], v[152:153]
	v_fma_f64 v[178:179], v[12:13], s[24:25], -v[14:15]
	v_add_f64 v[210:211], v[223:224], v[210:211]
	v_add_f64 v[223:224], v[146:147], v[2:3]
	v_fma_f64 v[160:161], v[212:213], s[24:25], v[221:222]
	v_fma_f64 v[219:220], v[212:213], s[34:35], v[6:7]
	v_fma_f64 v[229:230], v[212:213], s[34:35], -v[6:7]
	v_add_f64 v[6:7], v[148:149], v[16:17]
	v_add_f64 v[16:17], v[8:9], v[10:11]
	;; [unrolled: 1-line block ×9, first 2 shown]
	s_waitcnt vmcnt(0)
	v_add_f64 v[182:183], v[182:183], v[20:21]
	s_clause 0x1
	buffer_load_dword v20, off, s[60:63], 0 offset:456
	buffer_load_dword v21, off, s[60:63], 0 offset:460
	v_add_f64 v[158:159], v[182:183], v[158:159]
	v_fma_f64 v[182:183], v[12:13], s[34:35], -v[206:207]
	v_fma_f64 v[206:207], v[12:13], s[34:35], v[206:207]
	v_add_f64 v[2:3], v[182:183], v[126:127]
	v_fma_f64 v[182:183], v[212:213], s[24:25], -v[221:222]
	s_waitcnt vmcnt(0)
	v_add_f64 v[170:171], v[20:21], -v[170:171]
	s_clause 0x1
	buffer_load_dword v20, off, s[60:63], 0 offset:432
	buffer_load_dword v21, off, s[60:63], 0 offset:436
	v_add_f64 v[10:11], v[170:171], v[142:143]
	v_add_f64 v[142:143], v[178:179], v[204:205]
	s_waitcnt vmcnt(0)
	v_add_f64 v[166:167], v[166:167], v[20:21]
	s_clause 0x1
	buffer_load_dword v20, off, s[60:63], 0 offset:368
	buffer_load_dword v21, off, s[60:63], 0 offset:372
	v_add_f64 v[8:9], v[166:167], v[156:157]
	s_waitcnt vmcnt(0)
	v_add_f64 v[172:173], v[20:21], -v[172:173]
	s_clause 0x1
	buffer_load_dword v20, off, s[60:63], 0 offset:312
	buffer_load_dword v21, off, s[60:63], 0 offset:316
	v_add_f64 v[14:15], v[172:173], v[150:151]
	v_add_f64 v[150:151], v[176:177], v[18:19]
	s_waitcnt vmcnt(0)
	v_add_f64 v[174:175], v[174:175], v[20:21]
	s_clause 0x1
	buffer_load_dword v20, off, s[60:63], 0 offset:296
	buffer_load_dword v21, off, s[60:63], 0 offset:300
	v_add_f64 v[12:13], v[174:175], v[164:165]
	s_waitcnt vmcnt(0)
	v_add_f64 v[184:185], v[20:21], -v[184:185]
	s_clause 0x2
	buffer_load_dword v20, off, s[60:63], 0 offset:280
	buffer_load_dword v21, off, s[60:63], 0 offset:284
	buffer_load_dword v148, off, s[60:63], 0
	v_add_f64 v[126:127], v[184:185], v[168:169]
	s_waitcnt vmcnt(1)
	v_add_f64 v[214:215], v[214:215], v[20:21]
	v_add_f64 v[124:125], v[214:215], v[158:159]
	;; [unrolled: 1-line block ×3, first 2 shown]
	buffer_load_dword v16, off, s[60:63], 0 offset:4 ; 4-byte Folded Reload
	s_waitcnt vmcnt(1)
	v_mul_lo_u16 v156, v148, 17
	v_add_f64 v[148:149], v[180:181], v[154:155]
	v_add_f64 v[154:155], v[206:207], v[225:226]
	v_and_b32_e32 v18, 0xffff, v156
	v_add_f64 v[156:157], v[182:183], v[208:209]
	s_waitcnt vmcnt(0)
	v_lshl_add_u32 v16, v18, 4, v16
	ds_write_b128 v16, v[144:147]
	ds_write_b128 v16, v[140:143] offset:16
	ds_write_b128 v16, v[124:127] offset:32
	;; [unrolled: 1-line block ×16, first 2 shown]
.LBB0_17:
	s_or_b32 exec_lo, exec_lo, s1
	s_waitcnt lgkmcnt(0)
	s_waitcnt_vscnt null, 0x0
	s_barrier
	buffer_gl0_inv
	ds_read_b128 v[0:3], v255
	ds_read_b128 v[124:127], v255 offset:1088
	ds_read_b128 v[148:151], v255 offset:7616
	;; [unrolled: 1-line block ×11, first 2 shown]
	s_and_saveexec_b32 s1, s0
	s_cbranch_execz .LBB0_19
; %bb.18:
	ds_read_b128 v[200:203], v255 offset:3264
	ds_read_b128 v[196:199], v255 offset:7072
	;; [unrolled: 1-line block ×4, first 2 shown]
.LBB0_19:
	s_or_b32 exec_lo, exec_lo, s1
	s_clause 0x17
	buffer_load_dword v32, off, s[60:63], 0 offset:176
	buffer_load_dword v33, off, s[60:63], 0 offset:180
	;; [unrolled: 1-line block ×24, first 2 shown]
	s_waitcnt lgkmcnt(7)
	v_mul_f64 v[4:5], v[50:51], v[162:163]
	v_mul_f64 v[6:7], v[50:51], v[160:161]
	s_waitcnt lgkmcnt(3)
	v_mul_f64 v[12:13], v[46:47], v[166:167]
	v_mul_f64 v[14:15], v[46:47], v[164:165]
	;; [unrolled: 1-line block ×4, first 2 shown]
	s_waitcnt vmcnt(0) lgkmcnt(0)
	s_barrier
	buffer_gl0_inv
	v_fma_f64 v[4:5], v[48:49], v[160:161], v[4:5]
	v_fma_f64 v[6:7], v[48:49], v[162:163], -v[6:7]
	v_fma_f64 v[12:13], v[44:45], v[164:165], v[12:13]
	v_fma_f64 v[14:15], v[44:45], v[166:167], -v[14:15]
	;; [unrolled: 2-line block ×3, first 2 shown]
	v_mul_f64 v[8:9], v[34:35], v[150:151]
	v_mul_f64 v[10:11], v[34:35], v[148:149]
	;; [unrolled: 1-line block ×12, first 2 shown]
	v_fma_f64 v[8:9], v[32:33], v[148:149], v[8:9]
	v_fma_f64 v[10:11], v[32:33], v[150:151], -v[10:11]
	v_fma_f64 v[32:33], v[36:37], v[132:133], v[34:35]
	v_fma_f64 v[34:35], v[36:37], v[134:135], -v[38:39]
	;; [unrolled: 2-line block ×6, first 2 shown]
	v_add_f64 v[42:43], v[0:1], -v[8:9]
	v_add_f64 v[44:45], v[2:3], -v[10:11]
	;; [unrolled: 1-line block ×12, first 2 shown]
	v_fma_f64 v[34:35], v[0:1], 2.0, -v[42:43]
	v_fma_f64 v[36:37], v[2:3], 2.0, -v[44:45]
	;; [unrolled: 1-line block ×12, first 2 shown]
	v_add_f64 v[1:2], v[42:43], v[10:11]
	v_add_f64 v[3:4], v[44:45], -v[8:9]
	v_add_f64 v[5:6], v[32:33], v[12:13]
	v_add_f64 v[7:8], v[46:47], -v[22:23]
	v_add_nc_u32_e32 v0, 0x440, v216
	v_add_f64 v[9:10], v[34:35], -v[14:15]
	v_add_f64 v[11:12], v[36:37], -v[24:25]
	;; [unrolled: 1-line block ×4, first 2 shown]
	v_add_f64 v[17:18], v[48:49], v[20:21]
	v_add_f64 v[19:20], v[50:51], -v[30:31]
	v_add_f64 v[21:22], v[124:125], -v[26:27]
	;; [unrolled: 1-line block ×3, first 2 shown]
	v_fma_f64 v[25:26], v[42:43], 2.0, -v[1:2]
	v_fma_f64 v[27:28], v[44:45], 2.0, -v[3:4]
	;; [unrolled: 1-line block ×9, first 2 shown]
	buffer_load_dword v49, off, s[60:63], 0 offset:120 ; 4-byte Folded Reload
	v_fma_f64 v[45:46], v[124:125], 2.0, -v[21:22]
	v_fma_f64 v[47:48], v[126:127], 2.0, -v[23:24]
	;; [unrolled: 1-line block ×3, first 2 shown]
	s_waitcnt vmcnt(0)
	ds_write_b128 v49, v[1:4] offset:816
	ds_write_b128 v49, v[25:28] offset:272
	ds_write_b128 v49, v[9:12] offset:544
	ds_write_b128 v49, v[33:36]
	buffer_load_dword v1, off, s[60:63], 0 offset:112 ; 4-byte Folded Reload
	s_waitcnt vmcnt(0)
	ds_write_b128 v1, v[37:40]
	ds_write_b128 v1, v[29:32] offset:272
	ds_write_b128 v1, v[13:16] offset:544
	;; [unrolled: 1-line block ×3, first 2 shown]
	buffer_load_dword v1, off, s[60:63], 0 offset:64 ; 4-byte Folded Reload
	s_waitcnt vmcnt(0)
	ds_write_b128 v1, v[45:48]
	ds_write_b128 v1, v[41:44] offset:272
	ds_write_b128 v1, v[21:24] offset:544
	;; [unrolled: 1-line block ×3, first 2 shown]
	s_and_saveexec_b32 s1, s0
	s_cbranch_execz .LBB0_21
; %bb.20:
	s_clause 0xb
	buffer_load_dword v17, off, s[60:63], 0 offset:232
	buffer_load_dword v18, off, s[60:63], 0 offset:236
	;; [unrolled: 1-line block ×12, first 2 shown]
	s_waitcnt vmcnt(8)
	v_mul_f64 v[1:2], v[19:20], v[192:193]
	s_waitcnt vmcnt(4)
	v_mul_f64 v[3:4], v[23:24], v[198:199]
	v_mul_f64 v[5:6], v[23:24], v[196:197]
	s_waitcnt vmcnt(0)
	v_mul_f64 v[7:8], v[15:16], v[188:189]
	v_mul_f64 v[9:10], v[19:20], v[194:195]
	;; [unrolled: 1-line block ×3, first 2 shown]
	v_fma_f64 v[1:2], v[17:18], v[194:195], -v[1:2]
	v_fma_f64 v[3:4], v[21:22], v[196:197], v[3:4]
	v_fma_f64 v[5:6], v[21:22], v[198:199], -v[5:6]
	v_fma_f64 v[7:8], v[13:14], v[190:191], -v[7:8]
	v_fma_f64 v[9:10], v[17:18], v[192:193], v[9:10]
	v_fma_f64 v[11:12], v[13:14], v[188:189], v[11:12]
	v_add_f64 v[13:14], v[202:203], -v[1:2]
	v_add_f64 v[1:2], v[5:6], -v[7:8]
	;; [unrolled: 1-line block ×4, first 2 shown]
	v_fma_f64 v[15:16], v[202:203], 2.0, -v[13:14]
	v_fma_f64 v[5:6], v[5:6], 2.0, -v[1:2]
	;; [unrolled: 1-line block ×4, first 2 shown]
	v_add_f64 v[3:4], v[13:14], -v[7:8]
	v_add_f64 v[1:2], v[9:10], v[1:2]
	v_add_f64 v[7:8], v[15:16], -v[5:6]
	v_add_f64 v[5:6], v[17:18], -v[11:12]
	v_fma_f64 v[11:12], v[13:14], 2.0, -v[3:4]
	v_fma_f64 v[9:10], v[9:10], 2.0, -v[1:2]
	v_fma_f64 v[15:16], v[15:16], 2.0, -v[7:8]
	v_fma_f64 v[13:14], v[17:18], 2.0, -v[5:6]
	s_clause 0x1
	buffer_load_dword v17, off, s[60:63], 0 offset:56
	buffer_load_dword v18, off, s[60:63], 0 offset:4
	s_waitcnt vmcnt(1)
	v_and_b32_e32 v17, 0xffff, v17
	s_waitcnt vmcnt(0)
	v_lshl_add_u32 v17, v17, 4, v18
	ds_write_b128 v17, v[9:12] offset:272
	ds_write_b128 v17, v[5:8] offset:544
	ds_write_b128 v17, v[13:16]
	ds_write_b128 v17, v[1:4] offset:816
.LBB0_21:
	s_or_b32 exec_lo, exec_lo, s1
	s_waitcnt lgkmcnt(0)
	s_barrier
	buffer_gl0_inv
	ds_read_b128 v[1:4], v255 offset:7616
	ds_read_b128 v[5:8], v255 offset:8704
	;; [unrolled: 1-line block ×8, first 2 shown]
	ds_read_b128 v[33:36], v255
	ds_read_b128 v[37:40], v255 offset:1088
	ds_read_b128 v[41:44], v255 offset:2176
	;; [unrolled: 1-line block ×5, first 2 shown]
	s_waitcnt lgkmcnt(0)
	s_barrier
	buffer_gl0_inv
	s_mov_b32 s8, 0x37e14327
	s_mov_b32 s0, 0x36b3c0b5
	;; [unrolled: 1-line block ×8, first 2 shown]
	v_mul_f64 v[49:50], v[66:67], v[3:4]
	v_mul_f64 v[132:133], v[66:67], v[1:2]
	;; [unrolled: 1-line block ×14, first 2 shown]
	s_mov_b32 s18, 0x5476071b
	s_mov_b32 s20, 0xb247c609
	;; [unrolled: 1-line block ×8, first 2 shown]
	v_fma_f64 v[1:2], v[64:65], v[1:2], v[49:50]
	v_fma_f64 v[3:4], v[64:65], v[3:4], -v[132:133]
	v_fma_f64 v[5:6], v[64:65], v[5:6], v[134:135]
	v_fma_f64 v[7:8], v[64:65], v[7:8], -v[66:67]
	;; [unrolled: 2-line block ×7, first 2 shown]
	s_mov_b32 s25, 0x3fd5d0dc
	s_mov_b32 s24, s20
	v_add_f64 v[1:2], v[33:34], -v[1:2]
	v_add_f64 v[3:4], v[35:36], -v[3:4]
	;; [unrolled: 1-line block ×14, first 2 shown]
	v_fma_f64 v[33:34], v[33:34], 2.0, -v[1:2]
	v_fma_f64 v[35:36], v[35:36], 2.0, -v[3:4]
	;; [unrolled: 1-line block ×14, first 2 shown]
	ds_write_b128 v255, v[1:4] offset:1088
	ds_write_b128 v255, v[5:8] offset:3264
	ds_write_b128 v255, v[33:36]
	ds_write_b128 v255, v[37:40] offset:2176
	buffer_load_dword v1, off, s[60:63], 0 offset:104 ; 4-byte Folded Reload
	s_waitcnt vmcnt(0)
	ds_write_b128 v1, v[41:44] offset:4352
	ds_write_b128 v1, v[9:12] offset:5440
	buffer_load_dword v1, off, s[60:63], 0 offset:88 ; 4-byte Folded Reload
	s_waitcnt vmcnt(0)
	ds_write_b128 v1, v[45:48] offset:6528
	;; [unrolled: 4-line block ×5, first 2 shown]
	ds_write_b128 v1, v[25:28] offset:14144
	s_waitcnt lgkmcnt(0)
	s_barrier
	buffer_gl0_inv
	ds_read_b128 v[1:4], v255 offset:2176
	ds_read_b128 v[5:8], v255 offset:4352
	ds_read_b128 v[9:12], v255 offset:13056
	ds_read_b128 v[13:16], v255 offset:10880
	ds_read_b128 v[17:20], v255 offset:6528
	ds_read_b128 v[21:24], v255 offset:8704
	ds_read_b128 v[25:28], v255 offset:3264
	ds_read_b128 v[29:32], v255 offset:5440
	ds_read_b128 v[33:36], v255 offset:11968
	ds_read_b128 v[37:40], v255 offset:14144
	ds_read_b128 v[41:44], v255 offset:7616
	ds_read_b128 v[45:48], v255 offset:9792
	s_waitcnt lgkmcnt(11)
	v_mul_f64 v[49:50], v[62:63], v[3:4]
	v_mul_f64 v[62:63], v[62:63], v[1:2]
	s_waitcnt lgkmcnt(10)
	v_mul_f64 v[64:65], v[58:59], v[7:8]
	s_waitcnt lgkmcnt(9)
	;; [unrolled: 2-line block ×3, first 2 shown]
	v_mul_f64 v[96:97], v[82:83], v[15:16]
	v_mul_f64 v[58:59], v[58:59], v[5:6]
	v_mul_f64 v[70:71], v[70:71], v[9:10]
	v_mul_f64 v[82:83], v[82:83], v[13:14]
	s_waitcnt lgkmcnt(7)
	v_mul_f64 v[98:99], v[54:55], v[19:20]
	v_mul_f64 v[54:55], v[54:55], v[17:18]
	s_waitcnt lgkmcnt(6)
	v_mul_f64 v[100:101], v[74:75], v[23:24]
	v_mul_f64 v[74:75], v[74:75], v[21:22]
	;; [unrolled: 3-line block ×6, first 2 shown]
	v_fma_f64 v[49:50], v[60:61], v[1:2], v[49:50]
	v_fma_f64 v[60:61], v[60:61], v[3:4], -v[62:63]
	v_fma_f64 v[62:63], v[56:57], v[5:6], v[64:65]
	v_fma_f64 v[9:10], v[68:69], v[9:10], v[66:67]
	;; [unrolled: 1-line block ×3, first 2 shown]
	v_fma_f64 v[56:57], v[56:57], v[7:8], -v[58:59]
	v_fma_f64 v[11:12], v[68:69], v[11:12], -v[70:71]
	;; [unrolled: 1-line block ×3, first 2 shown]
	s_waitcnt lgkmcnt(1)
	v_mul_f64 v[1:2], v[78:79], v[43:44]
	v_mul_f64 v[3:4], v[78:79], v[41:42]
	s_waitcnt lgkmcnt(0)
	v_mul_f64 v[5:6], v[94:95], v[47:48]
	v_mul_f64 v[7:8], v[94:95], v[45:46]
	v_fma_f64 v[17:18], v[52:53], v[17:18], v[98:99]
	v_fma_f64 v[19:20], v[52:53], v[19:20], -v[54:55]
	v_fma_f64 v[21:22], v[72:73], v[21:22], v[100:101]
	v_fma_f64 v[23:24], v[72:73], v[23:24], -v[74:75]
	;; [unrolled: 2-line block ×6, first 2 shown]
	v_add_f64 v[51:52], v[49:50], v[9:10]
	v_add_f64 v[58:59], v[62:63], v[13:14]
	v_add_f64 v[9:10], v[49:50], -v[9:10]
	v_add_f64 v[53:54], v[60:61], v[11:12]
	v_add_f64 v[64:65], v[56:57], v[15:16]
	v_fma_f64 v[41:42], v[76:77], v[41:42], v[1:2]
	v_fma_f64 v[43:44], v[76:77], v[43:44], -v[3:4]
	v_fma_f64 v[45:46], v[92:93], v[45:46], v[5:6]
	v_fma_f64 v[47:48], v[92:93], v[47:48], -v[7:8]
	v_add_f64 v[11:12], v[60:61], -v[11:12]
	v_add_f64 v[15:16], v[56:57], -v[15:16]
	v_add_f64 v[49:50], v[17:18], v[21:22]
	v_add_f64 v[60:61], v[19:20], v[23:24]
	v_add_f64 v[17:18], v[21:22], -v[17:18]
	v_add_f64 v[19:20], v[23:24], -v[19:20]
	;; [unrolled: 1-line block ×3, first 2 shown]
	ds_read_b128 v[1:4], v255
	ds_read_b128 v[5:8], v255 offset:1088
	v_add_f64 v[21:22], v[25:26], v[37:38]
	v_add_f64 v[23:24], v[27:28], v[39:40]
	v_add_f64 v[25:26], v[25:26], -v[37:38]
	v_add_f64 v[27:28], v[27:28], -v[39:40]
	v_add_f64 v[37:38], v[29:30], v[33:34]
	v_add_f64 v[39:40], v[31:32], v[35:36]
	;; [unrolled: 1-line block ×3, first 2 shown]
	v_add_f64 v[29:30], v[29:30], -v[33:34]
	v_add_f64 v[31:32], v[31:32], -v[35:36]
	v_add_f64 v[62:63], v[64:65], v[53:54]
	v_add_f64 v[33:34], v[41:42], v[45:46]
	;; [unrolled: 1-line block ×3, first 2 shown]
	v_add_f64 v[41:42], v[45:46], -v[41:42]
	v_add_f64 v[43:44], v[47:48], -v[43:44]
	;; [unrolled: 1-line block ×8, first 2 shown]
	v_add_f64 v[68:69], v[19:20], v[15:16]
	v_add_f64 v[72:73], v[19:20], -v[15:16]
	v_add_f64 v[66:67], v[17:18], v[13:14]
	v_add_f64 v[70:71], v[17:18], -v[13:14]
	v_add_f64 v[74:75], v[37:38], v[21:22]
	v_add_f64 v[76:77], v[39:40], v[23:24]
	;; [unrolled: 1-line block ×3, first 2 shown]
	v_add_f64 v[19:20], v[11:12], -v[19:20]
	v_add_f64 v[13:14], v[13:14], -v[9:10]
	v_add_f64 v[55:56], v[60:61], v[62:63]
	v_add_f64 v[59:60], v[37:38], -v[21:22]
	v_add_f64 v[61:62], v[39:40], -v[23:24]
	;; [unrolled: 1-line block ×7, first 2 shown]
	v_add_f64 v[80:81], v[43:44], v[31:32]
	v_add_f64 v[82:83], v[41:42], -v[29:30]
	v_mul_f64 v[51:52], v[51:52], s[8:9]
	v_mul_f64 v[53:54], v[53:54], s[8:9]
	v_add_f64 v[78:79], v[41:42], v[29:30]
	v_add_f64 v[11:12], v[68:69], v[11:12]
	v_mul_f64 v[68:69], v[72:73], s[10:11]
	v_add_f64 v[17:18], v[9:10], -v[17:18]
	v_add_f64 v[84:85], v[43:44], -v[31:32]
	v_add_f64 v[33:34], v[33:34], v[74:75]
	v_add_f64 v[35:36], v[35:36], v[76:77]
	s_waitcnt lgkmcnt(1)
	v_add_f64 v[1:2], v[1:2], v[49:50]
	v_mul_f64 v[74:75], v[57:58], s[0:1]
	v_mul_f64 v[76:77], v[64:65], s[0:1]
	v_add_f64 v[43:44], v[27:28], -v[43:44]
	v_add_f64 v[29:30], v[29:30], -v[25:26]
	;; [unrolled: 1-line block ×3, first 2 shown]
	v_mul_f64 v[21:22], v[21:22], s[8:9]
	v_mul_f64 v[23:24], v[23:24], s[8:9]
	v_add_f64 v[3:4], v[3:4], v[55:56]
	v_add_f64 v[9:10], v[66:67], v[9:10]
	v_mul_f64 v[66:67], v[70:71], s[10:11]
	v_mul_f64 v[70:71], v[13:14], s[2:3]
	v_add_f64 v[27:28], v[80:81], v[27:28]
	v_mul_f64 v[80:81], v[39:40], s[0:1]
	v_mul_f64 v[82:83], v[82:83], s[10:11]
	v_fma_f64 v[57:58], v[57:58], s[0:1], v[51:52]
	v_fma_f64 v[63:64], v[64:65], s[0:1], v[53:54]
	v_add_f64 v[41:42], v[25:26], -v[41:42]
	v_add_f64 v[25:26], v[78:79], v[25:26]
	v_mul_f64 v[78:79], v[37:38], s[0:1]
	v_mul_f64 v[72:73], v[15:16], s[2:3]
	v_fma_f64 v[15:16], v[15:16], s[2:3], -v[68:69]
	v_fma_f64 v[49:50], v[49:50], s[16:17], v[1:2]
	v_fma_f64 v[74:75], v[45:46], s[18:19], -v[74:75]
	v_fma_f64 v[76:77], v[47:48], s[18:19], -v[76:77]
	;; [unrolled: 1-line block ×4, first 2 shown]
	v_fma_f64 v[53:54], v[19:20], s[20:21], v[68:69]
	v_fma_f64 v[37:38], v[37:38], s[0:1], v[21:22]
	v_fma_f64 v[39:40], v[39:40], s[0:1], v[23:24]
	s_mov_b32 s0, 0x37c3f68c
	s_mov_b32 s1, 0xbfdc38aa
	v_fma_f64 v[55:56], v[55:56], s[16:17], v[3:4]
	v_mul_f64 v[86:87], v[29:30], s[2:3]
	v_fma_f64 v[51:52], v[17:18], s[20:21], v[66:67]
	v_fma_f64 v[13:14], v[13:14], s[2:3], -v[66:67]
	v_fma_f64 v[17:18], v[17:18], s[24:25], -v[70:71]
	v_fma_f64 v[67:68], v[61:62], s[18:19], -v[80:81]
	v_fma_f64 v[23:24], v[61:62], s[22:23], -v[23:24]
	v_fma_f64 v[29:30], v[29:30], s[2:3], -v[82:83]
	v_fma_f64 v[21:22], v[59:60], s[22:23], -v[21:22]
	v_fma_f64 v[65:66], v[59:60], s[18:19], -v[78:79]
	v_mul_f64 v[84:85], v[84:85], s[10:11]
	s_waitcnt lgkmcnt(0)
	v_add_f64 v[5:6], v[5:6], v[33:34]
	v_add_f64 v[57:58], v[57:58], v[49:50]
	;; [unrolled: 1-line block ×5, first 2 shown]
	v_mul_f64 v[88:89], v[31:32], s[2:3]
	v_fma_f64 v[49:50], v[11:12], s[0:1], v[53:54]
	v_fma_f64 v[19:20], v[19:20], s[24:25], -v[72:73]
	v_fma_f64 v[71:72], v[41:42], s[20:21], v[82:83]
	v_fma_f64 v[73:74], v[11:12], s[0:1], v[15:16]
	v_add_f64 v[59:60], v[63:64], v[55:56]
	v_add_f64 v[63:64], v[76:77], v[55:56]
	;; [unrolled: 1-line block ×3, first 2 shown]
	v_fma_f64 v[51:52], v[9:10], s[0:1], v[51:52]
	v_fma_f64 v[55:56], v[9:10], s[0:1], v[17:18]
	;; [unrolled: 1-line block ×3, first 2 shown]
	v_fma_f64 v[41:42], v[41:42], s[24:25], -v[86:87]
	v_fma_f64 v[91:92], v[25:26], s[0:1], v[29:30]
	v_fma_f64 v[69:70], v[43:44], s[20:21], v[84:85]
	;; [unrolled: 1-line block ×3, first 2 shown]
	v_fma_f64 v[31:32], v[31:32], s[2:3], -v[84:85]
	v_fma_f64 v[35:36], v[35:36], s[16:17], v[7:8]
	v_fma_f64 v[43:44], v[43:44], s[24:25], -v[88:89]
	v_add_f64 v[9:10], v[49:50], v[57:58]
	v_add_f64 v[29:30], v[57:58], -v[49:50]
	buffer_load_dword v57, off, s[60:63], 0 offset:8 ; 4-byte Folded Reload
	v_fma_f64 v[53:54], v[11:12], s[0:1], v[19:20]
	v_fma_f64 v[71:72], v[25:26], s[0:1], v[71:72]
	v_add_f64 v[17:18], v[61:62], -v[73:74]
	v_add_f64 v[11:12], v[59:60], -v[51:52]
	;; [unrolled: 1-line block ×3, first 2 shown]
	v_add_f64 v[19:20], v[75:76], v[63:64]
	v_fma_f64 v[87:88], v[25:26], s[0:1], v[41:42]
	v_fma_f64 v[69:70], v[27:28], s[0:1], v[69:70]
	v_add_f64 v[77:78], v[37:38], v[33:34]
	v_add_f64 v[81:82], v[21:22], v[33:34]
	;; [unrolled: 1-line block ×5, first 2 shown]
	v_fma_f64 v[85:86], v[27:28], s[0:1], v[43:44]
	v_add_f64 v[67:68], v[67:68], v[35:36]
	v_fma_f64 v[89:90], v[27:28], s[0:1], v[31:32]
	v_add_f64 v[21:22], v[73:74], v[61:62]
	v_add_f64 v[13:14], v[53:54], v[45:46]
	v_add_f64 v[23:24], v[63:64], -v[75:76]
	v_add_f64 v[25:26], v[45:46], -v[53:54]
	v_add_f64 v[27:28], v[55:56], v[47:48]
	v_add_f64 v[31:32], v[51:52], v[59:60]
	s_and_b32 s0, exec_lo, vcc_lo
	v_add_f64 v[33:34], v[69:70], v[77:78]
	v_add_f64 v[53:54], v[77:78], -v[69:70]
	v_add_f64 v[35:36], v[79:80], -v[71:72]
	;; [unrolled: 1-line block ×3, first 2 shown]
	v_add_f64 v[37:38], v[85:86], v[81:82]
	v_add_f64 v[43:44], v[91:92], v[67:68]
	v_add_f64 v[41:42], v[65:66], -v[89:90]
	v_add_f64 v[45:46], v[89:90], v[65:66]
	v_add_f64 v[47:48], v[67:68], -v[91:92]
	v_add_f64 v[49:50], v[81:82], -v[85:86]
	v_add_f64 v[51:52], v[87:88], v[83:84]
	v_add_f64 v[55:56], v[71:72], v[79:80]
	s_waitcnt vmcnt(0)
	ds_write_b128 v57, v[1:4]
	ds_write_b128 v216, v[9:12] offset:2176
	ds_write_b128 v216, v[13:16] offset:4352
	;; [unrolled: 1-line block ×13, first 2 shown]
	s_waitcnt lgkmcnt(0)
	s_barrier
	buffer_gl0_inv
	s_clause 0x1
	buffer_load_dword v16, off, s[60:63], 0 offset:16
	buffer_load_dword v17, off, s[60:63], 0 offset:20
	s_mov_b32 exec_lo, s0
	s_cbranch_execz .LBB0_23
; %bb.22:
	buffer_load_dword v17, off, s[60:63], 0 ; 4-byte Folded Reload
	s_waitcnt vmcnt(2)
	v_mad_u64_u32 v[14:15], null, s6, v16, 0
	s_mov_b32 s0, 0x1135c811
	s_mov_b32 s1, 0x3f5135c8
	s_mul_i32 s2, s5, 0x380
	s_mul_hi_u32 s6, s4, 0x380
	s_mul_i32 s3, s4, 0x380
	s_add_i32 s2, s6, s2
	s_waitcnt vmcnt(0)
	v_lshlrev_b32_e32 v18, 4, v17
	global_load_dwordx4 v[0:3], v18, s[12:13]
	ds_read_b128 v[4:7], v57
	ds_read_b128 v[8:11], v216 offset:896
	v_add_co_u32 v20, s6, s12, v18
	v_add_co_ci_u32_e64 v21, null, s13, 0, s6
	s_waitcnt vmcnt(0) lgkmcnt(1)
	v_mul_f64 v[12:13], v[6:7], v[2:3]
	v_mul_f64 v[2:3], v[4:5], v[2:3]
	v_fma_f64 v[4:5], v[4:5], v[0:1], v[12:13]
	v_fma_f64 v[0:1], v[0:1], v[6:7], -v[2:3]
	v_mad_u64_u32 v[6:7], null, s4, v17, 0
	v_mov_b32_e32 v2, v15
	v_mov_b32_e32 v3, v7
	v_mad_u64_u32 v[12:13], null, s7, v16, v[2:3]
	v_mad_u64_u32 v[16:17], null, s5, v17, v[3:4]
	v_mov_b32_e32 v15, v12
	v_mul_f64 v[2:3], v[4:5], s[0:1]
	v_mul_f64 v[4:5], v[0:1], s[0:1]
	v_lshlrev_b64 v[0:1], 4, v[14:15]
	v_mov_b32_e32 v7, v16
	v_add_co_u32 v0, vcc_lo, s14, v0
	v_lshlrev_b64 v[6:7], 4, v[6:7]
	v_add_co_ci_u32_e32 v1, vcc_lo, s15, v1, vcc_lo
	v_add_co_u32 v6, vcc_lo, v0, v6
	v_add_co_ci_u32_e32 v7, vcc_lo, v1, v7, vcc_lo
	v_add_co_u32 v14, vcc_lo, v6, s3
	global_store_dwordx4 v[6:7], v[2:5], off
	global_load_dwordx4 v[2:5], v18, s[12:13] offset:896
	v_add_co_ci_u32_e32 v15, vcc_lo, s2, v7, vcc_lo
	s_waitcnt vmcnt(0) lgkmcnt(0)
	v_mul_f64 v[12:13], v[10:11], v[4:5]
	v_mul_f64 v[4:5], v[8:9], v[4:5]
	v_fma_f64 v[8:9], v[8:9], v[2:3], v[12:13]
	v_fma_f64 v[4:5], v[2:3], v[10:11], -v[4:5]
	v_mul_f64 v[2:3], v[8:9], s[0:1]
	v_mul_f64 v[4:5], v[4:5], s[0:1]
	global_store_dwordx4 v[14:15], v[2:5], off
	global_load_dwordx4 v[2:5], v18, s[12:13] offset:1792
	ds_read_b128 v[6:9], v216 offset:1792
	ds_read_b128 v[10:13], v216 offset:2688
	s_waitcnt vmcnt(0) lgkmcnt(1)
	v_mul_f64 v[16:17], v[8:9], v[4:5]
	v_mul_f64 v[4:5], v[6:7], v[4:5]
	v_fma_f64 v[6:7], v[6:7], v[2:3], v[16:17]
	v_fma_f64 v[4:5], v[2:3], v[8:9], -v[4:5]
	v_mul_f64 v[2:3], v[6:7], s[0:1]
	v_mul_f64 v[4:5], v[4:5], s[0:1]
	v_add_co_u32 v6, vcc_lo, v14, s3
	v_add_co_ci_u32_e32 v7, vcc_lo, s2, v15, vcc_lo
	v_add_co_u32 v8, vcc_lo, 0x800, v20
	v_add_co_ci_u32_e32 v9, vcc_lo, 0, v21, vcc_lo
	global_store_dwordx4 v[6:7], v[2:5], off
	global_load_dwordx4 v[2:5], v[8:9], off offset:640
	s_waitcnt vmcnt(0) lgkmcnt(0)
	v_mul_f64 v[14:15], v[12:13], v[4:5]
	v_mul_f64 v[4:5], v[10:11], v[4:5]
	v_fma_f64 v[10:11], v[10:11], v[2:3], v[14:15]
	v_fma_f64 v[4:5], v[2:3], v[12:13], -v[4:5]
	v_add_co_u32 v14, vcc_lo, v6, s3
	v_add_co_ci_u32_e32 v15, vcc_lo, s2, v7, vcc_lo
	v_mul_f64 v[2:3], v[10:11], s[0:1]
	v_mul_f64 v[4:5], v[4:5], s[0:1]
	global_store_dwordx4 v[14:15], v[2:5], off
	global_load_dwordx4 v[2:5], v[8:9], off offset:1536
	ds_read_b128 v[6:9], v216 offset:3584
	ds_read_b128 v[10:13], v216 offset:4480
	s_waitcnt vmcnt(0) lgkmcnt(1)
	v_mul_f64 v[16:17], v[8:9], v[4:5]
	v_mul_f64 v[4:5], v[6:7], v[4:5]
	v_fma_f64 v[6:7], v[6:7], v[2:3], v[16:17]
	v_fma_f64 v[4:5], v[2:3], v[8:9], -v[4:5]
	v_mul_f64 v[2:3], v[6:7], s[0:1]
	v_mul_f64 v[4:5], v[4:5], s[0:1]
	v_add_co_u32 v6, vcc_lo, v14, s3
	v_add_co_ci_u32_e32 v7, vcc_lo, s2, v15, vcc_lo
	v_add_co_u32 v8, vcc_lo, 0x1000, v20
	v_add_co_ci_u32_e32 v9, vcc_lo, 0, v21, vcc_lo
	global_store_dwordx4 v[6:7], v[2:5], off
	global_load_dwordx4 v[2:5], v[8:9], off offset:384
	s_waitcnt vmcnt(0) lgkmcnt(0)
	v_mul_f64 v[14:15], v[12:13], v[4:5]
	v_mul_f64 v[4:5], v[10:11], v[4:5]
	v_fma_f64 v[10:11], v[10:11], v[2:3], v[14:15]
	v_fma_f64 v[4:5], v[2:3], v[12:13], -v[4:5]
	v_add_co_u32 v14, vcc_lo, v6, s3
	v_add_co_ci_u32_e32 v15, vcc_lo, s2, v7, vcc_lo
	v_mul_f64 v[2:3], v[10:11], s[0:1]
	v_mul_f64 v[4:5], v[4:5], s[0:1]
	global_store_dwordx4 v[14:15], v[2:5], off
	global_load_dwordx4 v[2:5], v[8:9], off offset:1280
	ds_read_b128 v[6:9], v216 offset:5376
	ds_read_b128 v[10:13], v216 offset:6272
	buffer_load_dword v22, off, s[60:63], 0 offset:212 ; 4-byte Folded Reload
	s_waitcnt vmcnt(1) lgkmcnt(1)
	v_mul_f64 v[16:17], v[8:9], v[4:5]
	v_mul_f64 v[4:5], v[6:7], v[4:5]
	v_fma_f64 v[6:7], v[6:7], v[2:3], v[16:17]
	v_fma_f64 v[4:5], v[2:3], v[8:9], -v[4:5]
	v_mul_f64 v[2:3], v[6:7], s[0:1]
	v_mul_f64 v[4:5], v[4:5], s[0:1]
	v_add_co_u32 v6, vcc_lo, v14, s3
	v_add_co_ci_u32_e32 v7, vcc_lo, s2, v15, vcc_lo
	v_add_co_u32 v14, vcc_lo, 0x1800, v20
	v_add_co_ci_u32_e32 v15, vcc_lo, 0, v21, vcc_lo
	;; [unrolled: 2-line block ×3, first 2 shown]
	global_store_dwordx4 v[6:7], v[2:5], off
	global_load_dwordx4 v[2:5], v[14:15], off offset:128
	s_waitcnt vmcnt(1)
	v_lshlrev_b32_e32 v6, 4, v22
	s_waitcnt vmcnt(0) lgkmcnt(0)
	v_mul_f64 v[8:9], v[12:13], v[4:5]
	v_mul_f64 v[4:5], v[10:11], v[4:5]
	v_fma_f64 v[8:9], v[10:11], v[2:3], v[8:9]
	v_fma_f64 v[4:5], v[2:3], v[12:13], -v[4:5]
	v_mul_f64 v[2:3], v[8:9], s[0:1]
	v_mul_f64 v[4:5], v[4:5], s[0:1]
	global_store_dwordx4 v[16:17], v[2:5], off
	global_load_dwordx4 v[2:5], v6, s[12:13]
	ds_read_b128 v[6:9], v216 offset:7168
	ds_read_b128 v[10:13], v216 offset:8064
	s_waitcnt vmcnt(0) lgkmcnt(1)
	v_mul_f64 v[18:19], v[8:9], v[4:5]
	v_mul_f64 v[4:5], v[6:7], v[4:5]
	v_fma_f64 v[6:7], v[6:7], v[2:3], v[18:19]
	v_fma_f64 v[4:5], v[2:3], v[8:9], -v[4:5]
	v_mad_u64_u32 v[8:9], null, s4, v22, 0
	v_mov_b32_e32 v2, v9
	v_mad_u64_u32 v[18:19], null, s5, v22, v[2:3]
	v_mul_f64 v[2:3], v[6:7], s[0:1]
	v_mul_f64 v[4:5], v[4:5], s[0:1]
	v_mov_b32_e32 v9, v18
	v_lshlrev_b64 v[6:7], 4, v[8:9]
	v_add_co_u32 v6, vcc_lo, v0, v6
	v_add_co_ci_u32_e32 v7, vcc_lo, v1, v7, vcc_lo
	global_store_dwordx4 v[6:7], v[2:5], off
	global_load_dwordx4 v[2:5], v[14:15], off offset:1920
	v_mad_u64_u32 v[14:15], null, 0x700, s4, v[16:17]
	v_add_co_u32 v16, vcc_lo, 0x2000, v20
	v_add_co_ci_u32_e32 v17, vcc_lo, 0, v21, vcc_lo
	s_waitcnt vmcnt(0) lgkmcnt(0)
	v_mul_f64 v[6:7], v[12:13], v[4:5]
	v_mul_f64 v[4:5], v[10:11], v[4:5]
	v_fma_f64 v[6:7], v[10:11], v[2:3], v[6:7]
	v_fma_f64 v[4:5], v[2:3], v[12:13], -v[4:5]
	v_mul_f64 v[2:3], v[6:7], s[0:1]
	v_mul_f64 v[4:5], v[4:5], s[0:1]
	v_mov_b32_e32 v6, v15
	v_mad_u64_u32 v[6:7], null, 0x700, s5, v[6:7]
	v_mov_b32_e32 v15, v6
	global_store_dwordx4 v[14:15], v[2:5], off
	global_load_dwordx4 v[2:5], v[16:17], off offset:768
	ds_read_b128 v[6:9], v216 offset:8960
	ds_read_b128 v[10:13], v216 offset:9856
	s_waitcnt vmcnt(0) lgkmcnt(1)
	v_mul_f64 v[18:19], v[8:9], v[4:5]
	v_mul_f64 v[4:5], v[6:7], v[4:5]
	v_fma_f64 v[6:7], v[6:7], v[2:3], v[18:19]
	v_fma_f64 v[4:5], v[2:3], v[8:9], -v[4:5]
	v_mul_f64 v[2:3], v[6:7], s[0:1]
	v_mul_f64 v[4:5], v[4:5], s[0:1]
	v_add_co_u32 v6, vcc_lo, v14, s3
	v_add_co_ci_u32_e32 v7, vcc_lo, s2, v15, vcc_lo
	v_add_co_u32 v14, vcc_lo, v6, s3
	v_add_co_ci_u32_e32 v15, vcc_lo, s2, v7, vcc_lo
	global_store_dwordx4 v[6:7], v[2:5], off
	global_load_dwordx4 v[2:5], v[16:17], off offset:1664
	v_add_co_u32 v16, vcc_lo, 0x2800, v20
	v_add_co_ci_u32_e32 v17, vcc_lo, 0, v21, vcc_lo
	s_waitcnt vmcnt(0) lgkmcnt(0)
	v_mul_f64 v[8:9], v[12:13], v[4:5]
	v_mul_f64 v[4:5], v[10:11], v[4:5]
	v_fma_f64 v[8:9], v[10:11], v[2:3], v[8:9]
	v_fma_f64 v[4:5], v[2:3], v[12:13], -v[4:5]
	v_mul_f64 v[2:3], v[8:9], s[0:1]
	v_mul_f64 v[4:5], v[4:5], s[0:1]
	global_store_dwordx4 v[14:15], v[2:5], off
	global_load_dwordx4 v[2:5], v[16:17], off offset:512
	ds_read_b128 v[6:9], v216 offset:10752
	ds_read_b128 v[10:13], v216 offset:11648
	s_waitcnt vmcnt(0) lgkmcnt(1)
	v_mul_f64 v[18:19], v[8:9], v[4:5]
	v_mul_f64 v[4:5], v[6:7], v[4:5]
	v_fma_f64 v[6:7], v[6:7], v[2:3], v[18:19]
	v_fma_f64 v[4:5], v[2:3], v[8:9], -v[4:5]
	v_mul_f64 v[2:3], v[6:7], s[0:1]
	v_mul_f64 v[4:5], v[4:5], s[0:1]
	v_add_co_u32 v6, vcc_lo, v14, s3
	v_add_co_ci_u32_e32 v7, vcc_lo, s2, v15, vcc_lo
	v_add_co_u32 v14, vcc_lo, v6, s3
	v_add_co_ci_u32_e32 v15, vcc_lo, s2, v7, vcc_lo
	global_store_dwordx4 v[6:7], v[2:5], off
	global_load_dwordx4 v[2:5], v[16:17], off offset:1408
	v_add_co_u32 v16, vcc_lo, 0x3000, v20
	v_add_co_ci_u32_e32 v17, vcc_lo, 0, v21, vcc_lo
	s_waitcnt vmcnt(0) lgkmcnt(0)
	v_mul_f64 v[8:9], v[12:13], v[4:5]
	v_mul_f64 v[4:5], v[10:11], v[4:5]
	v_fma_f64 v[8:9], v[10:11], v[2:3], v[8:9]
	v_fma_f64 v[4:5], v[2:3], v[12:13], -v[4:5]
	v_mul_f64 v[2:3], v[8:9], s[0:1]
	v_mul_f64 v[4:5], v[4:5], s[0:1]
	global_store_dwordx4 v[14:15], v[2:5], off
	global_load_dwordx4 v[2:5], v[16:17], off offset:256
	ds_read_b128 v[6:9], v216 offset:12544
	ds_read_b128 v[10:13], v216 offset:13440
	s_waitcnt vmcnt(0) lgkmcnt(1)
	v_mul_f64 v[18:19], v[8:9], v[4:5]
	v_mul_f64 v[4:5], v[6:7], v[4:5]
	v_fma_f64 v[6:7], v[6:7], v[2:3], v[18:19]
	v_fma_f64 v[4:5], v[2:3], v[8:9], -v[4:5]
	v_mul_f64 v[2:3], v[6:7], s[0:1]
	v_mul_f64 v[4:5], v[4:5], s[0:1]
	v_add_co_u32 v6, vcc_lo, v14, s3
	v_add_co_ci_u32_e32 v7, vcc_lo, s2, v15, vcc_lo
	global_store_dwordx4 v[6:7], v[2:5], off
	global_load_dwordx4 v[2:5], v[16:17], off offset:1152
	v_add_co_u32 v6, vcc_lo, v6, s3
	v_add_co_ci_u32_e32 v7, vcc_lo, s2, v7, vcc_lo
	s_waitcnt vmcnt(0) lgkmcnt(0)
	v_mul_f64 v[8:9], v[12:13], v[4:5]
	v_mul_f64 v[4:5], v[10:11], v[4:5]
	v_fma_f64 v[8:9], v[10:11], v[2:3], v[8:9]
	v_fma_f64 v[4:5], v[2:3], v[12:13], -v[4:5]
	buffer_load_dword v12, off, s[60:63], 0 offset:208 ; 4-byte Folded Reload
	v_mul_f64 v[2:3], v[8:9], s[0:1]
	v_mul_f64 v[4:5], v[4:5], s[0:1]
	global_store_dwordx4 v[6:7], v[2:5], off
	s_waitcnt vmcnt(0)
	v_lshlrev_b32_e32 v8, 4, v12
	global_load_dwordx4 v[2:5], v8, s[12:13]
	ds_read_b128 v[6:9], v216 offset:14336
	s_waitcnt vmcnt(0) lgkmcnt(0)
	v_mul_f64 v[10:11], v[8:9], v[4:5]
	v_mul_f64 v[4:5], v[6:7], v[4:5]
	v_fma_f64 v[6:7], v[6:7], v[2:3], v[10:11]
	v_fma_f64 v[4:5], v[2:3], v[8:9], -v[4:5]
	v_mad_u64_u32 v[8:9], null, s4, v12, 0
	v_mov_b32_e32 v2, v9
	v_mad_u64_u32 v[9:10], null, s5, v12, v[2:3]
	v_mul_f64 v[2:3], v[6:7], s[0:1]
	v_mul_f64 v[4:5], v[4:5], s[0:1]
	v_lshlrev_b64 v[6:7], 4, v[8:9]
	v_add_co_u32 v0, vcc_lo, v0, v6
	v_add_co_ci_u32_e32 v1, vcc_lo, v1, v7, vcc_lo
	global_store_dwordx4 v[0:1], v[2:5], off
.LBB0_23:
	s_endpgm
	.section	.rodata,"a",@progbits
	.p2align	6, 0x0
	.amdhsa_kernel bluestein_single_fwd_len952_dim1_dp_op_CI_CI
		.amdhsa_group_segment_fixed_size 45696
		.amdhsa_private_segment_fixed_size 748
		.amdhsa_kernarg_size 104
		.amdhsa_user_sgpr_count 6
		.amdhsa_user_sgpr_private_segment_buffer 1
		.amdhsa_user_sgpr_dispatch_ptr 0
		.amdhsa_user_sgpr_queue_ptr 0
		.amdhsa_user_sgpr_kernarg_segment_ptr 1
		.amdhsa_user_sgpr_dispatch_id 0
		.amdhsa_user_sgpr_flat_scratch_init 0
		.amdhsa_user_sgpr_private_segment_size 0
		.amdhsa_wavefront_size32 1
		.amdhsa_uses_dynamic_stack 0
		.amdhsa_system_sgpr_private_segment_wavefront_offset 1
		.amdhsa_system_sgpr_workgroup_id_x 1
		.amdhsa_system_sgpr_workgroup_id_y 0
		.amdhsa_system_sgpr_workgroup_id_z 0
		.amdhsa_system_sgpr_workgroup_info 0
		.amdhsa_system_vgpr_workitem_id 0
		.amdhsa_next_free_vgpr 256
		.amdhsa_next_free_sgpr 64
		.amdhsa_reserve_vcc 1
		.amdhsa_reserve_flat_scratch 0
		.amdhsa_float_round_mode_32 0
		.amdhsa_float_round_mode_16_64 0
		.amdhsa_float_denorm_mode_32 3
		.amdhsa_float_denorm_mode_16_64 3
		.amdhsa_dx10_clamp 1
		.amdhsa_ieee_mode 1
		.amdhsa_fp16_overflow 0
		.amdhsa_workgroup_processor_mode 1
		.amdhsa_memory_ordered 1
		.amdhsa_forward_progress 0
		.amdhsa_shared_vgpr_count 0
		.amdhsa_exception_fp_ieee_invalid_op 0
		.amdhsa_exception_fp_denorm_src 0
		.amdhsa_exception_fp_ieee_div_zero 0
		.amdhsa_exception_fp_ieee_overflow 0
		.amdhsa_exception_fp_ieee_underflow 0
		.amdhsa_exception_fp_ieee_inexact 0
		.amdhsa_exception_int_div_zero 0
	.end_amdhsa_kernel
	.text
.Lfunc_end0:
	.size	bluestein_single_fwd_len952_dim1_dp_op_CI_CI, .Lfunc_end0-bluestein_single_fwd_len952_dim1_dp_op_CI_CI
                                        ; -- End function
	.section	.AMDGPU.csdata,"",@progbits
; Kernel info:
; codeLenInByte = 32748
; NumSgprs: 66
; NumVgprs: 256
; ScratchSize: 748
; MemoryBound: 0
; FloatMode: 240
; IeeeMode: 1
; LDSByteSize: 45696 bytes/workgroup (compile time only)
; SGPRBlocks: 8
; VGPRBlocks: 31
; NumSGPRsForWavesPerEU: 66
; NumVGPRsForWavesPerEU: 256
; Occupancy: 4
; WaveLimiterHint : 1
; COMPUTE_PGM_RSRC2:SCRATCH_EN: 1
; COMPUTE_PGM_RSRC2:USER_SGPR: 6
; COMPUTE_PGM_RSRC2:TRAP_HANDLER: 0
; COMPUTE_PGM_RSRC2:TGID_X_EN: 1
; COMPUTE_PGM_RSRC2:TGID_Y_EN: 0
; COMPUTE_PGM_RSRC2:TGID_Z_EN: 0
; COMPUTE_PGM_RSRC2:TIDIG_COMP_CNT: 0
	.text
	.p2alignl 6, 3214868480
	.fill 48, 4, 3214868480
	.type	__hip_cuid_156ec0e21a7a54c8,@object ; @__hip_cuid_156ec0e21a7a54c8
	.section	.bss,"aw",@nobits
	.globl	__hip_cuid_156ec0e21a7a54c8
__hip_cuid_156ec0e21a7a54c8:
	.byte	0                               ; 0x0
	.size	__hip_cuid_156ec0e21a7a54c8, 1

	.ident	"AMD clang version 19.0.0git (https://github.com/RadeonOpenCompute/llvm-project roc-6.4.0 25133 c7fe45cf4b819c5991fe208aaa96edf142730f1d)"
	.section	".note.GNU-stack","",@progbits
	.addrsig
	.addrsig_sym __hip_cuid_156ec0e21a7a54c8
	.amdgpu_metadata
---
amdhsa.kernels:
  - .args:
      - .actual_access:  read_only
        .address_space:  global
        .offset:         0
        .size:           8
        .value_kind:     global_buffer
      - .actual_access:  read_only
        .address_space:  global
        .offset:         8
        .size:           8
        .value_kind:     global_buffer
      - .actual_access:  read_only
        .address_space:  global
        .offset:         16
        .size:           8
        .value_kind:     global_buffer
      - .actual_access:  read_only
        .address_space:  global
        .offset:         24
        .size:           8
        .value_kind:     global_buffer
      - .actual_access:  read_only
        .address_space:  global
        .offset:         32
        .size:           8
        .value_kind:     global_buffer
      - .offset:         40
        .size:           8
        .value_kind:     by_value
      - .address_space:  global
        .offset:         48
        .size:           8
        .value_kind:     global_buffer
      - .address_space:  global
        .offset:         56
        .size:           8
        .value_kind:     global_buffer
      - .address_space:  global
        .offset:         64
        .size:           8
        .value_kind:     global_buffer
      - .address_space:  global
        .offset:         72
        .size:           8
        .value_kind:     global_buffer
      - .offset:         80
        .size:           4
        .value_kind:     by_value
      - .address_space:  global
        .offset:         88
        .size:           8
        .value_kind:     global_buffer
      - .address_space:  global
        .offset:         96
        .size:           8
        .value_kind:     global_buffer
    .group_segment_fixed_size: 45696
    .kernarg_segment_align: 8
    .kernarg_segment_size: 104
    .language:       OpenCL C
    .language_version:
      - 2
      - 0
    .max_flat_workgroup_size: 204
    .name:           bluestein_single_fwd_len952_dim1_dp_op_CI_CI
    .private_segment_fixed_size: 748
    .sgpr_count:     66
    .sgpr_spill_count: 0
    .symbol:         bluestein_single_fwd_len952_dim1_dp_op_CI_CI.kd
    .uniform_work_group_size: 1
    .uses_dynamic_stack: false
    .vgpr_count:     256
    .vgpr_spill_count: 238
    .wavefront_size: 32
    .workgroup_processor_mode: 1
amdhsa.target:   amdgcn-amd-amdhsa--gfx1030
amdhsa.version:
  - 1
  - 2
...

	.end_amdgpu_metadata
